;; amdgpu-corpus repo=ROCm/rocFFT kind=compiled arch=gfx1100 opt=O3
	.text
	.amdgcn_target "amdgcn-amd-amdhsa--gfx1100"
	.amdhsa_code_object_version 6
	.protected	fft_rtc_back_len680_factors_17_4_10_wgs_204_tpt_68_halfLds_dp_op_CI_CI_unitstride_sbrr_C2R_dirReg ; -- Begin function fft_rtc_back_len680_factors_17_4_10_wgs_204_tpt_68_halfLds_dp_op_CI_CI_unitstride_sbrr_C2R_dirReg
	.globl	fft_rtc_back_len680_factors_17_4_10_wgs_204_tpt_68_halfLds_dp_op_CI_CI_unitstride_sbrr_C2R_dirReg
	.p2align	8
	.type	fft_rtc_back_len680_factors_17_4_10_wgs_204_tpt_68_halfLds_dp_op_CI_CI_unitstride_sbrr_C2R_dirReg,@function
fft_rtc_back_len680_factors_17_4_10_wgs_204_tpt_68_halfLds_dp_op_CI_CI_unitstride_sbrr_C2R_dirReg: ; @fft_rtc_back_len680_factors_17_4_10_wgs_204_tpt_68_halfLds_dp_op_CI_CI_unitstride_sbrr_C2R_dirReg
; %bb.0:
	s_load_b128 s[8:11], s[0:1], 0x0
	v_mul_u32_u24_e32 v1, 0x3c4, v0
	s_clause 0x1
	s_load_b128 s[4:7], s[0:1], 0x58
	s_load_b128 s[16:19], s[0:1], 0x18
	v_mov_b32_e32 v5, 0
	v_lshrrev_b32_e32 v6, 16, v1
	v_mov_b32_e32 v1, 0
	v_mov_b32_e32 v2, 0
	s_delay_alu instid0(VALU_DEP_3) | instskip(NEXT) | instid1(VALU_DEP_2)
	v_mad_u64_u32 v[3:4], null, s15, 3, v[6:7]
	v_dual_mov_b32 v4, v5 :: v_dual_mov_b32 v85, v2
	s_delay_alu instid0(VALU_DEP_1) | instskip(NEXT) | instid1(VALU_DEP_3)
	v_dual_mov_b32 v84, v1 :: v_dual_mov_b32 v87, v4
	v_mov_b32_e32 v86, v3
	s_waitcnt lgkmcnt(0)
	v_cmp_lt_u64_e64 s2, s[10:11], 2
	s_delay_alu instid0(VALU_DEP_1)
	s_and_b32 vcc_lo, exec_lo, s2
	s_cbranch_vccnz .LBB0_8
; %bb.1:
	s_load_b64 s[2:3], s[0:1], 0x10
	v_dual_mov_b32 v1, 0 :: v_dual_mov_b32 v8, v4
	v_dual_mov_b32 v2, 0 :: v_dual_mov_b32 v7, v3
	s_add_u32 s12, s18, 8
	s_addc_u32 s13, s19, 0
	s_add_u32 s14, s16, 8
	s_delay_alu instid0(VALU_DEP_1)
	v_dual_mov_b32 v85, v2 :: v_dual_mov_b32 v84, v1
	s_addc_u32 s15, s17, 0
	s_mov_b64 s[22:23], 1
	s_waitcnt lgkmcnt(0)
	s_add_u32 s20, s2, 8
	s_addc_u32 s21, s3, 0
.LBB0_2:                                ; =>This Inner Loop Header: Depth=1
	s_load_b64 s[24:25], s[20:21], 0x0
                                        ; implicit-def: $vgpr86_vgpr87
	s_mov_b32 s2, exec_lo
	s_waitcnt lgkmcnt(0)
	v_or_b32_e32 v6, s25, v8
	s_delay_alu instid0(VALU_DEP_1)
	v_cmpx_ne_u64_e32 0, v[5:6]
	s_xor_b32 s3, exec_lo, s2
	s_cbranch_execz .LBB0_4
; %bb.3:                                ;   in Loop: Header=BB0_2 Depth=1
	v_cvt_f32_u32_e32 v4, s24
	v_cvt_f32_u32_e32 v6, s25
	s_sub_u32 s2, 0, s24
	s_subb_u32 s26, 0, s25
	s_delay_alu instid0(VALU_DEP_1) | instskip(NEXT) | instid1(VALU_DEP_1)
	v_fmac_f32_e32 v4, 0x4f800000, v6
	v_rcp_f32_e32 v4, v4
	s_waitcnt_depctr 0xfff
	v_mul_f32_e32 v4, 0x5f7ffffc, v4
	s_delay_alu instid0(VALU_DEP_1) | instskip(NEXT) | instid1(VALU_DEP_1)
	v_mul_f32_e32 v6, 0x2f800000, v4
	v_trunc_f32_e32 v6, v6
	s_delay_alu instid0(VALU_DEP_1) | instskip(SKIP_1) | instid1(VALU_DEP_2)
	v_fmac_f32_e32 v4, 0xcf800000, v6
	v_cvt_u32_f32_e32 v6, v6
	v_cvt_u32_f32_e32 v4, v4
	s_delay_alu instid0(VALU_DEP_2) | instskip(NEXT) | instid1(VALU_DEP_2)
	v_mul_lo_u32 v9, s2, v6
	v_mul_hi_u32 v10, s2, v4
	v_mul_lo_u32 v11, s26, v4
	s_delay_alu instid0(VALU_DEP_2) | instskip(SKIP_1) | instid1(VALU_DEP_2)
	v_add_nc_u32_e32 v9, v10, v9
	v_mul_lo_u32 v10, s2, v4
	v_add_nc_u32_e32 v9, v9, v11
	s_delay_alu instid0(VALU_DEP_2) | instskip(NEXT) | instid1(VALU_DEP_2)
	v_mul_hi_u32 v11, v4, v10
	v_mul_lo_u32 v12, v4, v9
	v_mul_hi_u32 v13, v4, v9
	v_mul_hi_u32 v14, v6, v10
	v_mul_lo_u32 v10, v6, v10
	v_mul_hi_u32 v15, v6, v9
	v_mul_lo_u32 v9, v6, v9
	v_add_co_u32 v11, vcc_lo, v11, v12
	v_add_co_ci_u32_e32 v12, vcc_lo, 0, v13, vcc_lo
	s_delay_alu instid0(VALU_DEP_2) | instskip(NEXT) | instid1(VALU_DEP_2)
	v_add_co_u32 v10, vcc_lo, v11, v10
	v_add_co_ci_u32_e32 v10, vcc_lo, v12, v14, vcc_lo
	v_add_co_ci_u32_e32 v11, vcc_lo, 0, v15, vcc_lo
	s_delay_alu instid0(VALU_DEP_2) | instskip(NEXT) | instid1(VALU_DEP_2)
	v_add_co_u32 v9, vcc_lo, v10, v9
	v_add_co_ci_u32_e32 v10, vcc_lo, 0, v11, vcc_lo
	s_delay_alu instid0(VALU_DEP_2) | instskip(NEXT) | instid1(VALU_DEP_2)
	v_add_co_u32 v4, vcc_lo, v4, v9
	v_add_co_ci_u32_e32 v6, vcc_lo, v6, v10, vcc_lo
	s_delay_alu instid0(VALU_DEP_2) | instskip(SKIP_1) | instid1(VALU_DEP_3)
	v_mul_hi_u32 v9, s2, v4
	v_mul_lo_u32 v11, s26, v4
	v_mul_lo_u32 v10, s2, v6
	s_delay_alu instid0(VALU_DEP_1) | instskip(SKIP_1) | instid1(VALU_DEP_2)
	v_add_nc_u32_e32 v9, v9, v10
	v_mul_lo_u32 v10, s2, v4
	v_add_nc_u32_e32 v9, v9, v11
	s_delay_alu instid0(VALU_DEP_2) | instskip(NEXT) | instid1(VALU_DEP_2)
	v_mul_hi_u32 v11, v4, v10
	v_mul_lo_u32 v12, v4, v9
	v_mul_hi_u32 v13, v4, v9
	v_mul_hi_u32 v14, v6, v10
	v_mul_lo_u32 v10, v6, v10
	v_mul_hi_u32 v15, v6, v9
	v_mul_lo_u32 v9, v6, v9
	v_add_co_u32 v11, vcc_lo, v11, v12
	v_add_co_ci_u32_e32 v12, vcc_lo, 0, v13, vcc_lo
	s_delay_alu instid0(VALU_DEP_2) | instskip(NEXT) | instid1(VALU_DEP_2)
	v_add_co_u32 v10, vcc_lo, v11, v10
	v_add_co_ci_u32_e32 v10, vcc_lo, v12, v14, vcc_lo
	v_add_co_ci_u32_e32 v11, vcc_lo, 0, v15, vcc_lo
	s_delay_alu instid0(VALU_DEP_2) | instskip(NEXT) | instid1(VALU_DEP_2)
	v_add_co_u32 v9, vcc_lo, v10, v9
	v_add_co_ci_u32_e32 v10, vcc_lo, 0, v11, vcc_lo
	s_delay_alu instid0(VALU_DEP_2) | instskip(NEXT) | instid1(VALU_DEP_2)
	v_add_co_u32 v4, vcc_lo, v4, v9
	v_add_co_ci_u32_e32 v6, vcc_lo, v6, v10, vcc_lo
	s_delay_alu instid0(VALU_DEP_2) | instskip(SKIP_1) | instid1(VALU_DEP_3)
	v_mul_hi_u32 v15, v7, v4
	v_mad_u64_u32 v[11:12], null, v8, v4, 0
	v_mad_u64_u32 v[9:10], null, v7, v6, 0
	;; [unrolled: 1-line block ×3, first 2 shown]
	s_delay_alu instid0(VALU_DEP_2) | instskip(NEXT) | instid1(VALU_DEP_3)
	v_add_co_u32 v4, vcc_lo, v15, v9
	v_add_co_ci_u32_e32 v6, vcc_lo, 0, v10, vcc_lo
	s_delay_alu instid0(VALU_DEP_2) | instskip(NEXT) | instid1(VALU_DEP_2)
	v_add_co_u32 v4, vcc_lo, v4, v11
	v_add_co_ci_u32_e32 v4, vcc_lo, v6, v12, vcc_lo
	v_add_co_ci_u32_e32 v6, vcc_lo, 0, v14, vcc_lo
	s_delay_alu instid0(VALU_DEP_2) | instskip(NEXT) | instid1(VALU_DEP_2)
	v_add_co_u32 v4, vcc_lo, v4, v13
	v_add_co_ci_u32_e32 v6, vcc_lo, 0, v6, vcc_lo
	s_delay_alu instid0(VALU_DEP_2) | instskip(SKIP_1) | instid1(VALU_DEP_3)
	v_mul_lo_u32 v11, s25, v4
	v_mad_u64_u32 v[9:10], null, s24, v4, 0
	v_mul_lo_u32 v12, s24, v6
	s_delay_alu instid0(VALU_DEP_2) | instskip(NEXT) | instid1(VALU_DEP_2)
	v_sub_co_u32 v9, vcc_lo, v7, v9
	v_add3_u32 v10, v10, v12, v11
	s_delay_alu instid0(VALU_DEP_1) | instskip(NEXT) | instid1(VALU_DEP_1)
	v_sub_nc_u32_e32 v11, v8, v10
	v_subrev_co_ci_u32_e64 v11, s2, s25, v11, vcc_lo
	v_add_co_u32 v12, s2, v4, 2
	s_delay_alu instid0(VALU_DEP_1) | instskip(SKIP_3) | instid1(VALU_DEP_3)
	v_add_co_ci_u32_e64 v13, s2, 0, v6, s2
	v_sub_co_u32 v14, s2, v9, s24
	v_sub_co_ci_u32_e32 v10, vcc_lo, v8, v10, vcc_lo
	v_subrev_co_ci_u32_e64 v11, s2, 0, v11, s2
	v_cmp_le_u32_e32 vcc_lo, s24, v14
	s_delay_alu instid0(VALU_DEP_3) | instskip(SKIP_1) | instid1(VALU_DEP_4)
	v_cmp_eq_u32_e64 s2, s25, v10
	v_cndmask_b32_e64 v14, 0, -1, vcc_lo
	v_cmp_le_u32_e32 vcc_lo, s25, v11
	v_cndmask_b32_e64 v15, 0, -1, vcc_lo
	v_cmp_le_u32_e32 vcc_lo, s24, v9
	;; [unrolled: 2-line block ×3, first 2 shown]
	v_cndmask_b32_e64 v16, 0, -1, vcc_lo
	v_cmp_eq_u32_e32 vcc_lo, s25, v11
	s_delay_alu instid0(VALU_DEP_2) | instskip(SKIP_3) | instid1(VALU_DEP_3)
	v_cndmask_b32_e64 v9, v16, v9, s2
	v_cndmask_b32_e32 v11, v15, v14, vcc_lo
	v_add_co_u32 v14, vcc_lo, v4, 1
	v_add_co_ci_u32_e32 v15, vcc_lo, 0, v6, vcc_lo
	v_cmp_ne_u32_e32 vcc_lo, 0, v11
	s_delay_alu instid0(VALU_DEP_2) | instskip(SKIP_1) | instid1(VALU_DEP_2)
	v_dual_cndmask_b32 v10, v15, v13 :: v_dual_cndmask_b32 v11, v14, v12
	v_cmp_ne_u32_e32 vcc_lo, 0, v9
	v_dual_cndmask_b32 v87, v6, v10 :: v_dual_cndmask_b32 v86, v4, v11
.LBB0_4:                                ;   in Loop: Header=BB0_2 Depth=1
	s_and_not1_saveexec_b32 s2, s3
	s_cbranch_execz .LBB0_6
; %bb.5:                                ;   in Loop: Header=BB0_2 Depth=1
	v_cvt_f32_u32_e32 v4, s24
	s_sub_i32 s3, 0, s24
	v_mov_b32_e32 v87, v5
	s_delay_alu instid0(VALU_DEP_2) | instskip(SKIP_2) | instid1(VALU_DEP_1)
	v_rcp_iflag_f32_e32 v4, v4
	s_waitcnt_depctr 0xfff
	v_mul_f32_e32 v4, 0x4f7ffffe, v4
	v_cvt_u32_f32_e32 v4, v4
	s_delay_alu instid0(VALU_DEP_1) | instskip(NEXT) | instid1(VALU_DEP_1)
	v_mul_lo_u32 v6, s3, v4
	v_mul_hi_u32 v6, v4, v6
	s_delay_alu instid0(VALU_DEP_1) | instskip(NEXT) | instid1(VALU_DEP_1)
	v_add_nc_u32_e32 v4, v4, v6
	v_mul_hi_u32 v4, v7, v4
	s_delay_alu instid0(VALU_DEP_1) | instskip(NEXT) | instid1(VALU_DEP_1)
	v_mul_lo_u32 v6, v4, s24
	v_sub_nc_u32_e32 v6, v7, v6
	s_delay_alu instid0(VALU_DEP_1) | instskip(SKIP_1) | instid1(VALU_DEP_2)
	v_subrev_nc_u32_e32 v10, s24, v6
	v_cmp_le_u32_e32 vcc_lo, s24, v6
	v_dual_cndmask_b32 v6, v6, v10 :: v_dual_add_nc_u32 v9, 1, v4
	s_delay_alu instid0(VALU_DEP_1) | instskip(NEXT) | instid1(VALU_DEP_2)
	v_cndmask_b32_e32 v4, v4, v9, vcc_lo
	v_cmp_le_u32_e32 vcc_lo, s24, v6
	s_delay_alu instid0(VALU_DEP_2) | instskip(NEXT) | instid1(VALU_DEP_1)
	v_add_nc_u32_e32 v9, 1, v4
	v_cndmask_b32_e32 v86, v4, v9, vcc_lo
.LBB0_6:                                ;   in Loop: Header=BB0_2 Depth=1
	s_or_b32 exec_lo, exec_lo, s2
	s_delay_alu instid0(VALU_DEP_1) | instskip(NEXT) | instid1(VALU_DEP_2)
	v_mul_lo_u32 v4, v87, s24
	v_mul_lo_u32 v6, v86, s25
	s_load_b64 s[2:3], s[14:15], 0x0
	v_mad_u64_u32 v[9:10], null, v86, s24, 0
	s_load_b64 s[24:25], s[12:13], 0x0
	s_add_u32 s22, s22, 1
	s_addc_u32 s23, s23, 0
	s_add_u32 s12, s12, 8
	s_addc_u32 s13, s13, 0
	s_add_u32 s14, s14, 8
	s_delay_alu instid0(VALU_DEP_1) | instskip(SKIP_3) | instid1(VALU_DEP_2)
	v_add3_u32 v4, v10, v6, v4
	v_sub_co_u32 v10, vcc_lo, v7, v9
	s_addc_u32 s15, s15, 0
	s_add_u32 s20, s20, 8
	v_sub_co_ci_u32_e32 v4, vcc_lo, v8, v4, vcc_lo
	s_addc_u32 s21, s21, 0
	s_waitcnt lgkmcnt(0)
	s_delay_alu instid0(VALU_DEP_1)
	v_mul_lo_u32 v11, s2, v4
	v_mul_lo_u32 v12, s3, v10
	v_mad_u64_u32 v[6:7], null, s2, v10, v[1:2]
	v_mul_lo_u32 v4, s24, v4
	v_mul_lo_u32 v13, s25, v10
	v_mad_u64_u32 v[8:9], null, s24, v10, v[84:85]
	v_cmp_ge_u64_e64 s2, s[22:23], s[10:11]
	v_add3_u32 v2, v12, v7, v11
	s_delay_alu instid0(VALU_DEP_3) | instskip(NEXT) | instid1(VALU_DEP_4)
	v_dual_mov_b32 v1, v6 :: v_dual_mov_b32 v84, v8
	v_add3_u32 v85, v13, v9, v4
	s_delay_alu instid0(VALU_DEP_4)
	s_and_b32 vcc_lo, exec_lo, s2
	s_cbranch_vccnz .LBB0_8
; %bb.7:                                ;   in Loop: Header=BB0_2 Depth=1
	v_dual_mov_b32 v7, v86 :: v_dual_mov_b32 v8, v87
	s_branch .LBB0_2
.LBB0_8:
	s_load_b64 s[0:1], s[0:1], 0x28
	v_mul_hi_u32 v4, 0xaaaaaaab, v3
	s_lshl_b64 s[10:11], s[10:11], 3
                                        ; implicit-def: $vgpr88
	s_delay_alu instid0(SALU_CYCLE_1) | instskip(SKIP_1) | instid1(VALU_DEP_1)
	s_add_u32 s2, s18, s10
	s_addc_u32 s3, s19, s11
	v_lshrrev_b32_e32 v4, 1, v4
	s_delay_alu instid0(VALU_DEP_1) | instskip(SKIP_1) | instid1(VALU_DEP_2)
	v_lshl_add_u32 v5, v4, 1, v4
	v_mul_hi_u32 v4, 0x3c3c3c4, v0
	v_sub_nc_u32_e32 v3, v3, v5
	s_waitcnt lgkmcnt(0)
	v_cmp_gt_u64_e32 vcc_lo, s[0:1], v[86:87]
	v_cmp_le_u64_e64 s0, s[0:1], v[86:87]
	s_delay_alu instid0(VALU_DEP_1) | instskip(NEXT) | instid1(SALU_CYCLE_1)
	s_and_saveexec_b32 s1, s0
	s_xor_b32 s0, exec_lo, s1
; %bb.9:
	s_delay_alu instid0(VALU_DEP_4) | instskip(NEXT) | instid1(VALU_DEP_1)
	v_mul_u32_u24_e32 v1, 0x44, v4
                                        ; implicit-def: $vgpr4
	v_sub_nc_u32_e32 v88, v0, v1
                                        ; implicit-def: $vgpr0
                                        ; implicit-def: $vgpr1_vgpr2
; %bb.10:
	s_or_saveexec_b32 s1, s0
	s_load_b64 s[2:3], s[2:3], 0x0
	v_mul_u32_u24_e32 v3, 0x2a9, v3
	s_delay_alu instid0(VALU_DEP_1)
	v_lshlrev_b32_e32 v220, 4, v3
	s_xor_b32 exec_lo, exec_lo, s1
	s_cbranch_execz .LBB0_14
; %bb.11:
	s_add_u32 s10, s16, s10
	s_addc_u32 s11, s17, s11
	v_lshlrev_b64 v[1:2], 4, v[1:2]
	s_load_b64 s[10:11], s[10:11], 0x0
	s_waitcnt lgkmcnt(0)
	v_mul_lo_u32 v7, s11, v86
	v_mul_lo_u32 v8, s10, v87
	v_mad_u64_u32 v[5:6], null, s10, v86, 0
	s_delay_alu instid0(VALU_DEP_1) | instskip(SKIP_1) | instid1(VALU_DEP_2)
	v_add3_u32 v6, v6, v8, v7
	v_mul_u32_u24_e32 v7, 0x44, v4
	v_lshlrev_b64 v[4:5], 4, v[5:6]
	s_delay_alu instid0(VALU_DEP_2) | instskip(NEXT) | instid1(VALU_DEP_1)
	v_sub_nc_u32_e32 v88, v0, v7
	v_lshlrev_b32_e32 v44, 4, v88
	s_delay_alu instid0(VALU_DEP_3) | instskip(NEXT) | instid1(VALU_DEP_1)
	v_add_co_u32 v0, s0, s4, v4
	v_add_co_ci_u32_e64 v4, s0, s5, v5, s0
	s_mov_b32 s4, exec_lo
	s_delay_alu instid0(VALU_DEP_2) | instskip(NEXT) | instid1(VALU_DEP_1)
	v_add_co_u32 v0, s0, v0, v1
	v_add_co_ci_u32_e64 v1, s0, v4, v2, s0
	v_add3_u32 v2, 0, v220, v44
	s_delay_alu instid0(VALU_DEP_3) | instskip(NEXT) | instid1(VALU_DEP_1)
	v_add_co_u32 v20, s0, v0, v44
	v_add_co_ci_u32_e64 v21, s0, 0, v1, s0
	s_clause 0x3
	global_load_b128 v[4:7], v[20:21], off
	global_load_b128 v[8:11], v[20:21], off offset:1088
	global_load_b128 v[12:15], v[20:21], off offset:2176
	;; [unrolled: 1-line block ×3, first 2 shown]
	v_add_co_u32 v32, s0, 0x1000, v20
	s_delay_alu instid0(VALU_DEP_1) | instskip(SKIP_1) | instid1(VALU_DEP_1)
	v_add_co_ci_u32_e64 v33, s0, 0, v21, s0
	v_add_co_u32 v40, s0, 0x2000, v20
	v_add_co_ci_u32_e64 v41, s0, 0, v21, s0
	s_clause 0x5
	global_load_b128 v[20:23], v[32:33], off offset:256
	global_load_b128 v[24:27], v[32:33], off offset:1344
	;; [unrolled: 1-line block ×6, first 2 shown]
	s_waitcnt vmcnt(9)
	ds_store_b128 v2, v[4:7]
	s_waitcnt vmcnt(8)
	ds_store_b128 v2, v[8:11] offset:1088
	s_waitcnt vmcnt(7)
	ds_store_b128 v2, v[12:15] offset:2176
	s_waitcnt vmcnt(6)
	ds_store_b128 v2, v[16:19] offset:3264
	s_waitcnt vmcnt(5)
	ds_store_b128 v2, v[20:23] offset:4352
	s_waitcnt vmcnt(4)
	ds_store_b128 v2, v[24:27] offset:5440
	s_waitcnt vmcnt(3)
	ds_store_b128 v2, v[28:31] offset:6528
	s_waitcnt vmcnt(2)
	ds_store_b128 v2, v[32:35] offset:7616
	s_waitcnt vmcnt(1)
	ds_store_b128 v2, v[36:39] offset:8704
	s_waitcnt vmcnt(0)
	ds_store_b128 v2, v[40:43] offset:9792
	v_cmpx_eq_u32_e32 0x43, v88
	s_cbranch_execz .LBB0_13
; %bb.12:
	v_add_co_u32 v0, s0, 0x2000, v0
	s_delay_alu instid0(VALU_DEP_1)
	v_add_co_ci_u32_e64 v1, s0, 0, v1, s0
	v_mov_b32_e32 v88, 0x43
	global_load_b128 v[4:7], v[0:1], off offset:2688
	s_waitcnt vmcnt(0)
	ds_store_b128 v2, v[4:7] offset:9808
.LBB0_13:
	s_or_b32 exec_lo, exec_lo, s4
.LBB0_14:
	s_delay_alu instid0(SALU_CYCLE_1)
	s_or_b32 exec_lo, exec_lo, s1
	v_lshl_add_u32 v217, v3, 4, 0
	v_lshlrev_b32_e32 v10, 4, v88
	s_waitcnt lgkmcnt(0)
	s_barrier
	buffer_gl0_inv
	s_add_u32 s1, s8, 0x2970
	v_add_nc_u32_e32 v218, v217, v10
	v_sub_nc_u32_e32 v11, v217, v10
	s_addc_u32 s4, s9, 0
	s_mov_b32 s5, exec_lo
	ds_load_b64 v[6:7], v218
	ds_load_b64 v[8:9], v11 offset:10880
                                        ; implicit-def: $vgpr4_vgpr5
	s_waitcnt lgkmcnt(0)
	v_add_f64 v[0:1], v[6:7], v[8:9]
	v_add_f64 v[2:3], v[6:7], -v[8:9]
	v_cmpx_ne_u32_e32 0, v88
	s_xor_b32 s5, exec_lo, s5
	s_cbranch_execz .LBB0_16
; %bb.15:
	v_mov_b32_e32 v89, 0
	v_add_f64 v[14:15], v[6:7], v[8:9]
	v_add_f64 v[16:17], v[6:7], -v[8:9]
	s_delay_alu instid0(VALU_DEP_3) | instskip(NEXT) | instid1(VALU_DEP_1)
	v_lshlrev_b64 v[0:1], 4, v[88:89]
	v_add_co_u32 v0, s0, s1, v0
	s_delay_alu instid0(VALU_DEP_1)
	v_add_co_ci_u32_e64 v1, s0, s4, v1, s0
	global_load_b128 v[2:5], v[0:1], off
	ds_load_b64 v[0:1], v11 offset:10888
	ds_load_b64 v[12:13], v218 offset:8
	s_waitcnt lgkmcnt(0)
	v_add_f64 v[6:7], v[0:1], v[12:13]
	v_add_f64 v[0:1], v[12:13], -v[0:1]
	s_waitcnt vmcnt(0)
	v_fma_f64 v[8:9], v[16:17], v[4:5], v[14:15]
	v_fma_f64 v[12:13], -v[16:17], v[4:5], v[14:15]
	s_delay_alu instid0(VALU_DEP_3) | instskip(SKIP_1) | instid1(VALU_DEP_4)
	v_fma_f64 v[14:15], v[6:7], v[4:5], -v[0:1]
	v_fma_f64 v[4:5], v[6:7], v[4:5], v[0:1]
	v_fma_f64 v[0:1], -v[6:7], v[2:3], v[8:9]
	s_delay_alu instid0(VALU_DEP_4) | instskip(NEXT) | instid1(VALU_DEP_4)
	v_fma_f64 v[6:7], v[6:7], v[2:3], v[12:13]
	v_fma_f64 v[8:9], v[16:17], v[2:3], v[14:15]
	s_delay_alu instid0(VALU_DEP_4)
	v_fma_f64 v[2:3], v[16:17], v[2:3], v[4:5]
	v_dual_mov_b32 v4, v88 :: v_dual_mov_b32 v5, v89
	ds_store_b128 v11, v[6:9] offset:10880
.LBB0_16:
	s_and_not1_saveexec_b32 s0, s5
	s_cbranch_execz .LBB0_18
; %bb.17:
	ds_load_b128 v[4:7], v217 offset:5440
	s_waitcnt lgkmcnt(0)
	v_add_f64 v[12:13], v[4:5], v[4:5]
	v_mul_f64 v[14:15], v[6:7], -2.0
	v_mov_b32_e32 v4, 0
	v_mov_b32_e32 v5, 0
	ds_store_b128 v217, v[12:15] offset:5440
.LBB0_18:
	s_or_b32 exec_lo, exec_lo, s0
	v_lshlrev_b64 v[4:5], 4, v[4:5]
	v_add3_u32 v219, 0, v10, v220
	s_mov_b32 s10, 0x6c9a05f6
	s_mov_b32 s14, 0x4363dd80
	;; [unrolled: 1-line block ×4, first 2 shown]
	v_add_co_u32 v24, s0, s1, v4
	s_delay_alu instid0(VALU_DEP_1)
	v_add_co_ci_u32_e64 v25, s0, s4, v5, s0
	s_mov_b32 s4, 0x6ed5f1bb
	s_mov_b32 s18, 0x7faef3
	;; [unrolled: 1-line block ×3, first 2 shown]
	s_clause 0x1
	global_load_b128 v[4:7], v[24:25], off offset:1088
	global_load_b128 v[12:15], v[24:25], off offset:2176
	ds_store_b128 v218, v[0:3]
	ds_load_b128 v[0:3], v218 offset:1088
	ds_load_b128 v[16:19], v11 offset:9792
	global_load_b128 v[20:23], v[24:25], off offset:3264
	s_mov_b32 s11, 0xbfe9895b
	s_mov_b32 s15, 0xbfe0d888
	;; [unrolled: 1-line block ×18, first 2 shown]
	s_waitcnt lgkmcnt(0)
	v_add_f64 v[8:9], v[0:1], v[16:17]
	v_add_f64 v[26:27], v[18:19], v[2:3]
	v_add_f64 v[16:17], v[0:1], -v[16:17]
	v_add_f64 v[0:1], v[2:3], -v[18:19]
	s_mov_b32 s36, s16
	s_mov_b32 s26, 0x3259b75e
	;; [unrolled: 1-line block ×23, first 2 shown]
	s_mov_b32 s1, exec_lo
	s_waitcnt vmcnt(2)
	s_delay_alu instid0(VALU_DEP_2) | instskip(NEXT) | instid1(VALU_DEP_2)
	v_fma_f64 v[2:3], v[16:17], v[6:7], v[8:9]
	v_fma_f64 v[18:19], v[26:27], v[6:7], v[0:1]
	v_fma_f64 v[8:9], -v[16:17], v[6:7], v[8:9]
	v_fma_f64 v[28:29], v[26:27], v[6:7], -v[0:1]
	s_delay_alu instid0(VALU_DEP_4) | instskip(NEXT) | instid1(VALU_DEP_4)
	v_fma_f64 v[0:1], -v[26:27], v[4:5], v[2:3]
	v_fma_f64 v[2:3], v[16:17], v[4:5], v[18:19]
	s_delay_alu instid0(VALU_DEP_4) | instskip(NEXT) | instid1(VALU_DEP_4)
	v_fma_f64 v[6:7], v[26:27], v[4:5], v[8:9]
	v_fma_f64 v[8:9], v[16:17], v[4:5], v[28:29]
	ds_store_b128 v218, v[0:3] offset:1088
	ds_store_b128 v11, v[6:9] offset:9792
	ds_load_b128 v[0:3], v218 offset:2176
	ds_load_b128 v[4:7], v11 offset:8704
	v_add_co_u32 v8, s0, 0x1000, v24
	s_delay_alu instid0(VALU_DEP_1)
	v_add_co_ci_u32_e64 v9, s0, 0, v25, s0
	global_load_b128 v[16:19], v[8:9], off offset:256
	s_waitcnt lgkmcnt(0)
	v_add_f64 v[8:9], v[0:1], v[4:5]
	v_add_f64 v[24:25], v[6:7], v[2:3]
	v_add_f64 v[26:27], v[0:1], -v[4:5]
	v_add_f64 v[0:1], v[2:3], -v[6:7]
	s_waitcnt vmcnt(2)
	s_delay_alu instid0(VALU_DEP_2) | instskip(NEXT) | instid1(VALU_DEP_2)
	v_fma_f64 v[2:3], v[26:27], v[14:15], v[8:9]
	v_fma_f64 v[4:5], v[24:25], v[14:15], v[0:1]
	v_fma_f64 v[6:7], -v[26:27], v[14:15], v[8:9]
	v_fma_f64 v[8:9], v[24:25], v[14:15], -v[0:1]
	s_delay_alu instid0(VALU_DEP_4) | instskip(NEXT) | instid1(VALU_DEP_4)
	v_fma_f64 v[0:1], -v[24:25], v[12:13], v[2:3]
	v_fma_f64 v[2:3], v[26:27], v[12:13], v[4:5]
	s_delay_alu instid0(VALU_DEP_4) | instskip(NEXT) | instid1(VALU_DEP_4)
	v_fma_f64 v[4:5], v[24:25], v[12:13], v[6:7]
	v_fma_f64 v[6:7], v[26:27], v[12:13], v[8:9]
	ds_store_b128 v218, v[0:3] offset:2176
	ds_store_b128 v11, v[4:7] offset:8704
	ds_load_b128 v[0:3], v218 offset:3264
	ds_load_b128 v[4:7], v11 offset:7616
	s_waitcnt lgkmcnt(0)
	v_add_f64 v[8:9], v[0:1], v[4:5]
	v_add_f64 v[12:13], v[6:7], v[2:3]
	v_add_f64 v[14:15], v[0:1], -v[4:5]
	v_add_f64 v[0:1], v[2:3], -v[6:7]
	s_waitcnt vmcnt(1)
	s_delay_alu instid0(VALU_DEP_2) | instskip(NEXT) | instid1(VALU_DEP_2)
	v_fma_f64 v[2:3], v[14:15], v[22:23], v[8:9]
	v_fma_f64 v[4:5], v[12:13], v[22:23], v[0:1]
	v_fma_f64 v[6:7], -v[14:15], v[22:23], v[8:9]
	v_fma_f64 v[8:9], v[12:13], v[22:23], -v[0:1]
	s_delay_alu instid0(VALU_DEP_4) | instskip(NEXT) | instid1(VALU_DEP_4)
	v_fma_f64 v[0:1], -v[12:13], v[20:21], v[2:3]
	v_fma_f64 v[2:3], v[14:15], v[20:21], v[4:5]
	s_delay_alu instid0(VALU_DEP_4) | instskip(NEXT) | instid1(VALU_DEP_4)
	v_fma_f64 v[4:5], v[12:13], v[20:21], v[6:7]
	v_fma_f64 v[6:7], v[14:15], v[20:21], v[8:9]
	ds_store_b128 v218, v[0:3] offset:3264
	ds_store_b128 v11, v[4:7] offset:7616
	ds_load_b128 v[0:3], v218 offset:4352
	ds_load_b128 v[4:7], v11 offset:6528
	s_waitcnt lgkmcnt(0)
	v_add_f64 v[8:9], v[0:1], v[4:5]
	v_add_f64 v[12:13], v[6:7], v[2:3]
	v_add_f64 v[14:15], v[0:1], -v[4:5]
	v_add_f64 v[0:1], v[2:3], -v[6:7]
	s_waitcnt vmcnt(0)
	s_delay_alu instid0(VALU_DEP_2) | instskip(NEXT) | instid1(VALU_DEP_2)
	v_fma_f64 v[2:3], v[14:15], v[18:19], v[8:9]
	v_fma_f64 v[4:5], v[12:13], v[18:19], v[0:1]
	v_fma_f64 v[6:7], -v[14:15], v[18:19], v[8:9]
	v_fma_f64 v[8:9], v[12:13], v[18:19], -v[0:1]
	s_delay_alu instid0(VALU_DEP_4) | instskip(NEXT) | instid1(VALU_DEP_4)
	v_fma_f64 v[0:1], -v[12:13], v[16:17], v[2:3]
	v_fma_f64 v[2:3], v[14:15], v[16:17], v[4:5]
	s_delay_alu instid0(VALU_DEP_4) | instskip(NEXT) | instid1(VALU_DEP_4)
	v_fma_f64 v[4:5], v[12:13], v[16:17], v[6:7]
	v_fma_f64 v[6:7], v[14:15], v[16:17], v[8:9]
	ds_store_b128 v218, v[0:3] offset:4352
	ds_store_b128 v11, v[4:7] offset:6528
	s_waitcnt lgkmcnt(0)
	s_barrier
	buffer_gl0_inv
	s_barrier
	buffer_gl0_inv
	ds_load_b128 v[16:19], v219 offset:10240
	ds_load_b128 v[32:35], v219 offset:640
	ds_load_b128 v[20:23], v218
	ds_load_b128 v[24:27], v219 offset:9600
	ds_load_b128 v[40:43], v219 offset:1280
	;; [unrolled: 1-line block ×8, first 2 shown]
	s_waitcnt lgkmcnt(9)
	v_add_f64 v[113:114], v[34:35], -v[18:19]
	v_add_f64 v[121:122], v[34:35], v[18:19]
	s_waitcnt lgkmcnt(6)
	v_add_f64 v[91:92], v[42:43], -v[26:27]
	v_add_f64 v[89:90], v[42:43], v[26:27]
	v_add_f64 v[149:150], v[32:33], v[16:17]
	v_add_f64 v[151:152], v[32:33], -v[16:17]
	s_waitcnt lgkmcnt(4)
	v_add_f64 v[97:98], v[46:47], -v[30:31]
	v_add_f64 v[93:94], v[46:47], v[30:31]
	v_add_f64 v[95:96], v[40:41], v[24:25]
	v_add_f64 v[99:100], v[40:41], -v[24:25]
	v_add_f64 v[101:102], v[44:45], v[28:29]
	v_add_f64 v[111:112], v[44:45], -v[28:29]
	s_waitcnt lgkmcnt(2)
	v_add_f64 v[109:110], v[58:59], -v[38:39]
	v_add_f64 v[103:104], v[58:59], v[38:39]
	v_add_f64 v[105:106], v[56:57], v[36:37]
	v_add_f64 v[123:124], v[56:57], -v[36:37]
	s_waitcnt lgkmcnt(0)
	v_add_f64 v[115:116], v[66:67], -v[50:51]
	v_add_f64 v[107:108], v[66:67], v[50:51]
	v_add_f64 v[117:118], v[64:65], v[48:49]
	v_add_f64 v[131:132], v[64:65], -v[48:49]
	v_mul_f64 v[153:154], v[113:114], s[10:11]
	v_mul_f64 v[155:156], v[121:122], s[4:5]
	;; [unrolled: 1-line block ×28, first 2 shown]
	v_fma_f64 v[6:7], v[149:150], s[4:5], -v[153:154]
	v_fma_f64 v[10:11], v[151:152], s[10:11], v[155:156]
	v_fma_f64 v[12:13], v[149:150], s[12:13], -v[161:162]
	v_fma_f64 v[14:15], v[151:152], s[14:15], v[167:168]
	v_fma_f64 v[52:53], v[149:150], s[18:19], v[0:1]
	v_fma_f64 v[54:55], v[151:152], s[36:37], v[2:3]
	v_fma_f64 v[0:1], v[149:150], s[18:19], -v[0:1]
	v_fma_f64 v[2:3], v[151:152], s[16:17], v[2:3]
	v_fma_f64 v[68:69], v[95:96], s[20:21], -v[157:158]
	v_fma_f64 v[70:71], v[99:100], s[34:35], v[159:160]
	v_fma_f64 v[72:73], v[95:96], s[22:23], -v[163:164]
	v_fma_f64 v[74:75], v[99:100], s[40:41], v[165:166]
	v_fma_f64 v[76:77], v[95:96], s[24:25], v[4:5]
	v_fma_f64 v[78:79], v[99:100], s[44:45], v[8:9]
	v_fma_f64 v[4:5], v[95:96], s[24:25], -v[4:5]
	v_fma_f64 v[8:9], v[99:100], s[38:39], v[8:9]
	;; [unrolled: 8-line block ×4, first 2 shown]
	v_fma_f64 v[221:222], v[117:118], s[26:27], -v[181:182]
	v_fma_f64 v[223:224], v[131:132], s[56:57], v[185:186]
	v_fma_f64 v[225:226], v[117:118], s[24:25], -v[191:192]
	v_fma_f64 v[227:228], v[131:132], s[44:45], v[197:198]
	v_add_f64 v[6:7], v[20:21], v[6:7]
	v_add_f64 v[10:11], v[22:23], v[10:11]
	;; [unrolled: 1-line block ×8, first 2 shown]
	ds_load_b128 v[52:55], v219 offset:7040
	v_add_f64 v[6:7], v[68:69], v[6:7]
	v_add_f64 v[10:11], v[70:71], v[10:11]
	ds_load_b128 v[68:71], v219 offset:3840
	v_add_f64 v[12:13], v[72:73], v[12:13]
	v_add_f64 v[14:15], v[74:75], v[14:15]
	;; [unrolled: 1-line block ×6, first 2 shown]
	v_mul_f64 v[4:5], v[115:116], s[10:11]
	v_mul_f64 v[8:9], v[107:108], s[4:5]
	ds_load_b128 v[76:79], v219 offset:4480
	ds_load_b128 v[60:63], v219 offset:6400
	s_waitcnt lgkmcnt(2)
	v_add_f64 v[129:130], v[70:71], -v[54:55]
	v_add_f64 v[119:120], v[70:71], v[54:55]
	v_add_f64 v[125:126], v[68:69], v[52:53]
	s_waitcnt lgkmcnt(0)
	v_add_f64 v[127:128], v[78:79], v[62:63]
	v_add_f64 v[6:7], v[133:134], v[6:7]
	;; [unrolled: 1-line block ×3, first 2 shown]
	v_add_f64 v[133:134], v[78:79], -v[62:63]
	v_add_f64 v[12:13], v[137:138], v[12:13]
	v_add_f64 v[14:15], v[139:140], v[14:15]
	;; [unrolled: 1-line block ×6, first 2 shown]
	v_add_f64 v[139:140], v[68:69], -v[52:53]
	v_fma_f64 v[229:230], v[117:118], s[4:5], v[4:5]
	v_fma_f64 v[231:232], v[131:132], s[54:55], v[8:9]
	v_fma_f64 v[4:5], v[117:118], s[4:5], -v[4:5]
	v_fma_f64 v[8:9], v[131:132], s[10:11], v[8:9]
	ds_load_b128 v[80:83], v219 offset:5120
	ds_load_b128 v[72:75], v219 offset:5760
	v_add_f64 v[145:146], v[76:77], -v[60:61]
	s_waitcnt lgkmcnt(0)
	s_barrier
	buffer_gl0_inv
	v_mul_f64 v[189:190], v[129:130], s[42:43]
	v_mul_f64 v[193:194], v[119:120], s[30:31]
	;; [unrolled: 1-line block ×7, first 2 shown]
	v_add_f64 v[143:144], v[82:83], -v[74:75]
	v_add_f64 v[6:7], v[195:196], v[6:7]
	v_add_f64 v[10:11], v[201:202], v[10:11]
	v_mul_f64 v[195:196], v[133:134], s[16:17]
	v_add_f64 v[12:13], v[203:204], v[12:13]
	v_add_f64 v[14:15], v[207:208], v[14:15]
	;; [unrolled: 1-line block ×8, first 2 shown]
	v_mul_f64 v[203:204], v[127:128], s[18:19]
	v_mul_f64 v[207:208], v[133:134], s[50:51]
	;; [unrolled: 1-line block ×4, first 2 shown]
	v_fma_f64 v[237:238], v[125:126], s[30:31], -v[189:190]
	v_fma_f64 v[239:240], v[139:140], s[42:43], v[193:194]
	v_fma_f64 v[241:242], v[125:126], s[18:19], -v[199:200]
	v_fma_f64 v[243:244], v[139:140], s[16:17], v[205:206]
	v_fma_f64 v[245:246], v[125:126], s[22:23], v[141:142]
	v_fma_f64 v[247:248], v[125:126], s[22:23], -v[141:142]
	v_fma_f64 v[249:250], v[139:140], s[40:41], v[147:148]
	v_add_f64 v[141:142], v[80:81], v[72:73]
	v_mul_f64 v[211:212], v[143:144], s[46:47]
	v_add_f64 v[6:7], v[221:222], v[6:7]
	v_fma_f64 v[221:222], v[139:140], s[48:49], v[147:148]
	v_add_f64 v[10:11], v[223:224], v[10:11]
	v_add_f64 v[12:13], v[225:226], v[12:13]
	v_add_f64 v[14:15], v[227:228], v[14:15]
	v_add_f64 v[223:224], v[229:230], v[201:202]
	v_add_f64 v[225:226], v[231:232], v[209:210]
	v_add_f64 v[0:1], v[4:5], v[0:1]
	v_add_f64 v[2:3], v[8:9], v[2:3]
	v_add_f64 v[147:148], v[80:81], -v[72:73]
	v_mul_f64 v[201:202], v[143:144], s[40:41]
	v_mul_f64 v[209:210], v[137:138], s[22:23]
	;; [unrolled: 1-line block ×5, first 2 shown]
	v_fma_f64 v[227:228], v[135:136], s[18:19], -v[195:196]
	v_fma_f64 v[229:230], v[145:146], s[16:17], v[203:204]
	v_fma_f64 v[231:232], v[135:136], s[30:31], -v[207:208]
	v_fma_f64 v[251:252], v[145:146], s[50:51], v[213:214]
	v_fma_f64 v[253:254], v[135:136], s[20:21], v[233:234]
	v_fma_f64 v[233:234], v[135:136], s[20:21], -v[233:234]
	v_add_f64 v[6:7], v[237:238], v[6:7]
	v_fma_f64 v[237:238], v[145:146], s[34:35], v[235:236]
	v_fma_f64 v[235:236], v[145:146], s[46:47], v[235:236]
	v_add_f64 v[10:11], v[239:240], v[10:11]
	v_add_f64 v[12:13], v[241:242], v[12:13]
	;; [unrolled: 1-line block ×7, first 2 shown]
	v_fma_f64 v[225:226], v[141:142], s[22:23], -v[201:202]
	v_fma_f64 v[239:240], v[147:148], s[40:41], v[209:210]
	v_fma_f64 v[241:242], v[141:142], s[20:21], -v[211:212]
	v_fma_f64 v[243:244], v[147:148], s[46:47], v[215:216]
	v_fma_f64 v[245:246], v[141:142], s[26:27], v[4:5]
	;; [unrolled: 1-line block ×3, first 2 shown]
	v_fma_f64 v[4:5], v[141:142], s[26:27], -v[4:5]
	v_fma_f64 v[249:250], v[147:148], s[56:57], v[8:9]
	v_add_f64 v[6:7], v[227:228], v[6:7]
	v_add_f64 v[8:9], v[229:230], v[10:11]
	;; [unrolled: 1-line block ×16, first 2 shown]
	v_cmpx_gt_u32_e32 40, v88
	s_cbranch_execz .LBB0_20
; %bb.19:
	v_add_f64 v[34:35], v[22:23], v[34:35]
	v_add_f64 v[32:33], v[20:21], v[32:33]
	s_delay_alu instid0(VALU_DEP_2) | instskip(NEXT) | instid1(VALU_DEP_2)
	v_add_f64 v[34:35], v[34:35], v[42:43]
	v_add_f64 v[32:33], v[32:33], v[40:41]
	v_mul_f64 v[40:41], v[151:152], s[44:45]
	s_delay_alu instid0(VALU_DEP_3) | instskip(NEXT) | instid1(VALU_DEP_3)
	v_add_f64 v[34:35], v[34:35], v[46:47]
	v_add_f64 v[32:33], v[32:33], v[44:45]
	s_delay_alu instid0(VALU_DEP_2) | instskip(NEXT) | instid1(VALU_DEP_2)
	v_add_f64 v[34:35], v[34:35], v[58:59]
	v_add_f64 v[32:33], v[32:33], v[56:57]
	v_mul_f64 v[56:57], v[113:114], s[48:49]
	v_mul_f64 v[58:59], v[113:114], s[42:43]
	s_delay_alu instid0(VALU_DEP_4) | instskip(NEXT) | instid1(VALU_DEP_4)
	v_add_f64 v[34:35], v[34:35], v[66:67]
	v_add_f64 v[32:33], v[32:33], v[64:65]
	s_delay_alu instid0(VALU_DEP_4) | instskip(SKIP_1) | instid1(VALU_DEP_4)
	v_fma_f64 v[66:67], v[149:150], s[22:23], -v[56:57]
	v_fma_f64 v[56:57], v[149:150], s[22:23], v[56:57]
	v_add_f64 v[34:35], v[34:35], v[70:71]
	s_delay_alu instid0(VALU_DEP_4)
	v_add_f64 v[32:33], v[32:33], v[68:69]
	v_fma_f64 v[68:69], v[149:150], s[30:31], -v[58:59]
	v_fma_f64 v[58:59], v[149:150], s[30:31], v[58:59]
	v_add_f64 v[66:67], v[20:21], v[66:67]
	v_add_f64 v[56:57], v[20:21], v[56:57]
	;; [unrolled: 1-line block ×6, first 2 shown]
	s_delay_alu instid0(VALU_DEP_4) | instskip(NEXT) | instid1(VALU_DEP_4)
	v_add_f64 v[34:35], v[34:35], v[82:83]
	v_add_f64 v[32:33], v[32:33], v[80:81]
	v_mul_f64 v[82:83], v[95:96], s[22:23]
	s_delay_alu instid0(VALU_DEP_3) | instskip(NEXT) | instid1(VALU_DEP_3)
	v_add_f64 v[34:35], v[34:35], v[74:75]
	v_add_f64 v[32:33], v[32:33], v[72:73]
	s_delay_alu instid0(VALU_DEP_3) | instskip(SKIP_1) | instid1(VALU_DEP_4)
	v_add_f64 v[82:83], v[82:83], v[163:164]
	v_mul_f64 v[163:164], v[99:100], s[28:29]
	v_add_f64 v[34:35], v[34:35], v[62:63]
	s_delay_alu instid0(VALU_DEP_4) | instskip(SKIP_1) | instid1(VALU_DEP_3)
	v_add_f64 v[32:33], v[32:33], v[60:61]
	v_mul_f64 v[60:61], v[113:114], s[44:45]
	v_add_f64 v[34:35], v[34:35], v[54:55]
	s_delay_alu instid0(VALU_DEP_3)
	v_add_f64 v[32:33], v[32:33], v[52:53]
	v_mul_f64 v[52:53], v[113:114], s[46:47]
	v_mul_f64 v[54:55], v[113:114], s[28:29]
	;; [unrolled: 1-line block ×3, first 2 shown]
	v_fma_f64 v[70:71], v[149:150], s[24:25], -v[60:61]
	v_fma_f64 v[60:61], v[149:150], s[24:25], v[60:61]
	v_add_f64 v[34:35], v[34:35], v[50:51]
	v_add_f64 v[32:33], v[32:33], v[48:49]
	v_fma_f64 v[50:51], v[121:122], s[24:25], v[40:41]
	v_fma_f64 v[40:41], v[121:122], s[24:25], -v[40:41]
	v_add_f64 v[113:114], v[113:114], v[177:178]
	v_fma_f64 v[62:63], v[149:150], s[20:21], -v[52:53]
	v_fma_f64 v[52:53], v[149:150], s[20:21], v[52:53]
	v_fma_f64 v[64:65], v[149:150], s[26:27], -v[54:55]
	v_fma_f64 v[54:55], v[149:150], s[26:27], v[54:55]
	v_add_f64 v[70:71], v[20:21], v[70:71]
	v_add_f64 v[60:61], v[20:21], v[60:61]
	v_mul_f64 v[177:178], v[139:140], s[34:35]
	v_add_f64 v[34:35], v[34:35], v[38:39]
	v_add_f64 v[32:33], v[32:33], v[36:37]
	v_mul_f64 v[38:39], v[151:152], s[42:43]
	v_add_f64 v[78:79], v[22:23], v[50:51]
	v_mul_f64 v[50:51], v[99:100], s[40:41]
	v_mul_f64 v[36:37], v[151:152], s[48:49]
	v_add_f64 v[80:81], v[22:23], v[40:41]
	v_mul_f64 v[40:41], v[111:112], s[28:29]
	v_add_f64 v[62:63], v[20:21], v[62:63]
	v_add_f64 v[52:53], v[20:21], v[52:53]
	;; [unrolled: 1-line block ×6, first 2 shown]
	v_fma_f64 v[48:49], v[121:122], s[30:31], v[38:39]
	v_fma_f64 v[38:39], v[121:122], s[30:31], -v[38:39]
	v_add_f64 v[50:51], v[165:166], -v[50:51]
	v_mul_f64 v[34:35], v[151:152], s[28:29]
	v_fma_f64 v[46:47], v[121:122], s[22:23], v[36:37]
	v_fma_f64 v[36:37], v[121:122], s[22:23], -v[36:37]
	v_add_f64 v[40:41], v[179:180], -v[40:41]
	v_mul_f64 v[32:33], v[151:152], s[46:47]
	v_mul_f64 v[165:166], v[91:92], s[28:29]
	;; [unrolled: 1-line block ×3, first 2 shown]
	v_add_f64 v[26:27], v[30:31], v[26:27]
	v_add_f64 v[24:25], v[28:29], v[24:25]
	;; [unrolled: 1-line block ×4, first 2 shown]
	v_mul_f64 v[38:39], v[123:124], s[54:55]
	v_mul_f64 v[28:29], v[151:152], s[10:11]
	;; [unrolled: 1-line block ×3, first 2 shown]
	v_fma_f64 v[44:45], v[121:122], s[26:27], v[34:35]
	v_fma_f64 v[34:35], v[121:122], s[26:27], -v[34:35]
	v_add_f64 v[74:75], v[22:23], v[46:47]
	v_add_f64 v[46:47], v[22:23], v[36:37]
	v_mul_f64 v[36:37], v[131:132], s[44:45]
	v_fma_f64 v[42:43], v[121:122], s[20:21], v[32:33]
	v_fma_f64 v[32:33], v[121:122], s[20:21], -v[32:33]
	v_add_f64 v[18:19], v[26:27], v[18:19]
	v_add_f64 v[16:17], v[24:25], v[16:17]
	v_mul_f64 v[24:25], v[151:152], s[14:15]
	v_mul_f64 v[26:27], v[149:150], s[12:13]
	v_add_f64 v[38:39], v[187:188], -v[38:39]
	v_add_f64 v[28:29], v[155:156], -v[28:29]
	v_add_f64 v[30:31], v[30:31], v[153:154]
	v_add_f64 v[44:45], v[22:23], v[44:45]
	;; [unrolled: 1-line block ×3, first 2 shown]
	v_mul_f64 v[34:35], v[139:140], s[16:17]
	v_mul_f64 v[155:156], v[147:148], s[10:11]
	v_add_f64 v[36:37], v[197:198], -v[36:37]
	v_add_f64 v[42:43], v[22:23], v[42:43]
	v_add_f64 v[32:33], v[22:23], v[32:33]
	v_mul_f64 v[187:188], v[143:144], s[38:39]
	v_mul_f64 v[197:198], v[109:110], s[34:35]
	v_add_f64 v[24:25], v[167:168], -v[24:25]
	v_add_f64 v[26:27], v[26:27], v[161:162]
	v_mul_f64 v[161:162], v[143:144], s[50:51]
	v_add_f64 v[28:29], v[22:23], v[28:29]
	v_add_f64 v[30:31], v[20:21], v[30:31]
	v_mul_f64 v[167:168], v[97:98], s[10:11]
	v_add_f64 v[34:35], v[205:206], -v[34:35]
	v_mul_f64 v[205:206], v[129:130], s[44:45]
	v_add_f64 v[24:25], v[22:23], v[24:25]
	v_add_f64 v[26:27], v[20:21], v[26:27]
	v_mul_f64 v[22:23], v[145:146], s[50:51]
	v_mul_f64 v[20:21], v[147:148], s[46:47]
	s_delay_alu instid0(VALU_DEP_4) | instskip(NEXT) | instid1(VALU_DEP_4)
	v_add_f64 v[24:25], v[50:51], v[24:25]
	v_add_f64 v[26:27], v[82:83], v[26:27]
	v_mul_f64 v[50:51], v[105:106], s[4:5]
	v_mul_f64 v[82:83], v[95:96], s[20:21]
	v_add_f64 v[22:23], v[213:214], -v[22:23]
	v_add_f64 v[20:21], v[215:216], -v[20:21]
	v_mul_f64 v[213:214], v[143:144], s[14:15]
	v_add_f64 v[24:25], v[40:41], v[24:25]
	v_add_f64 v[26:27], v[113:114], v[26:27]
	;; [unrolled: 1-line block ×3, first 2 shown]
	v_mul_f64 v[40:41], v[117:118], s[24:25]
	v_add_f64 v[82:83], v[82:83], v[157:158]
	v_mul_f64 v[113:114], v[101:102], s[24:25]
	v_mul_f64 v[157:158], v[143:144], s[10:11]
	;; [unrolled: 1-line block ×3, first 2 shown]
	v_add_f64 v[24:25], v[38:39], v[24:25]
	v_mul_f64 v[38:39], v[125:126], s[18:19]
	v_add_f64 v[26:27], v[50:51], v[26:27]
	v_add_f64 v[40:41], v[40:41], v[191:192]
	v_mul_f64 v[50:51], v[99:100], s[34:35]
	v_add_f64 v[113:114], v[113:114], v[169:170]
	v_add_f64 v[30:31], v[82:83], v[30:31]
	v_mul_f64 v[169:170], v[123:124], s[16:17]
	v_mul_f64 v[191:192], v[91:92], s[10:11]
	v_add_f64 v[24:25], v[36:37], v[24:25]
	v_add_f64 v[38:39], v[38:39], v[199:200]
	v_mul_f64 v[36:37], v[135:136], s[30:31]
	v_add_f64 v[26:27], v[40:41], v[26:27]
	v_mul_f64 v[40:41], v[111:112], s[44:45]
	v_add_f64 v[50:51], v[159:160], -v[50:51]
	v_add_f64 v[30:31], v[113:114], v[30:31]
	v_mul_f64 v[159:160], v[147:148], s[50:51]
	v_mul_f64 v[199:200], v[131:132], s[50:51]
	v_add_f64 v[24:25], v[34:35], v[24:25]
	v_mul_f64 v[34:35], v[141:142], s[20:21]
	v_add_f64 v[36:37], v[36:37], v[207:208]
	v_add_f64 v[26:27], v[38:39], v[26:27]
	v_mul_f64 v[38:39], v[123:124], s[14:15]
	v_add_f64 v[40:41], v[171:172], -v[40:41]
	v_add_f64 v[28:29], v[50:51], v[28:29]
	v_mul_f64 v[50:51], v[105:106], s[12:13]
	v_mul_f64 v[171:172], v[109:110], s[16:17]
	;; [unrolled: 1-line block ×3, first 2 shown]
	v_add_f64 v[22:23], v[22:23], v[24:25]
	v_add_f64 v[34:35], v[34:35], v[211:212]
	v_mul_f64 v[211:212], v[147:148], s[14:15]
	v_add_f64 v[24:25], v[36:37], v[26:27]
	v_mul_f64 v[36:37], v[131:132], s[56:57]
	v_add_f64 v[38:39], v[175:176], -v[38:39]
	v_add_f64 v[28:29], v[40:41], v[28:29]
	v_add_f64 v[50:51], v[50:51], v[173:174]
	v_mul_f64 v[40:41], v[117:118], s[26:27]
	v_mul_f64 v[26:27], v[145:146], s[16:17]
	;; [unrolled: 1-line block ×4, first 2 shown]
	v_add_f64 v[22:23], v[20:21], v[22:23]
	v_add_f64 v[20:21], v[34:35], v[24:25]
	v_mul_f64 v[34:35], v[139:140], s[42:43]
	v_add_f64 v[36:37], v[185:186], -v[36:37]
	v_add_f64 v[28:29], v[38:39], v[28:29]
	v_add_f64 v[30:31], v[50:51], v[30:31]
	;; [unrolled: 1-line block ×3, first 2 shown]
	v_mul_f64 v[38:39], v[125:126], s[30:31]
	v_mul_f64 v[24:25], v[147:148], s[40:41]
	v_add_f64 v[26:27], v[203:204], -v[26:27]
	v_mul_f64 v[181:182], v[145:146], s[40:41]
	v_mul_f64 v[185:186], v[147:148], s[38:39]
	;; [unrolled: 1-line block ×3, first 2 shown]
	v_add_f64 v[34:35], v[193:194], -v[34:35]
	v_mul_f64 v[193:194], v[97:98], s[36:37]
	v_add_f64 v[28:29], v[36:37], v[28:29]
	v_mul_f64 v[36:37], v[135:136], s[18:19]
	v_add_f64 v[30:31], v[40:41], v[30:31]
	v_add_f64 v[38:39], v[38:39], v[189:190]
	v_add_f64 v[24:25], v[209:210], -v[24:25]
	v_mul_f64 v[189:190], v[99:100], s[10:11]
	v_mul_f64 v[209:210], v[133:134], s[28:29]
	v_add_f64 v[28:29], v[34:35], v[28:29]
	v_add_f64 v[36:37], v[36:37], v[195:196]
	v_mul_f64 v[34:35], v[141:142], s[22:23]
	v_add_f64 v[30:31], v[38:39], v[30:31]
	v_mul_f64 v[38:39], v[111:112], s[50:51]
	v_mul_f64 v[195:196], v[123:124], s[34:35]
	v_add_f64 v[26:27], v[26:27], v[28:29]
	v_add_f64 v[34:35], v[34:35], v[201:202]
	;; [unrolled: 1-line block ×3, first 2 shown]
	v_mul_f64 v[36:37], v[91:92], s[52:53]
	v_fma_f64 v[40:41], v[93:94], s[30:31], v[38:39]
	v_mul_f64 v[201:202], v[115:116], s[50:51]
	v_add_f64 v[26:27], v[24:25], v[26:27]
	v_add_f64 v[24:25], v[34:35], v[28:29]
	v_mul_f64 v[34:35], v[99:100], s[52:53]
	v_fma_f64 v[30:31], v[95:96], s[12:13], -v[36:37]
	s_delay_alu instid0(VALU_DEP_2) | instskip(NEXT) | instid1(VALU_DEP_2)
	v_fma_f64 v[28:29], v[89:90], s[12:13], v[34:35]
	v_add_f64 v[30:31], v[30:31], v[62:63]
	v_fma_f64 v[34:35], v[89:90], s[12:13], -v[34:35]
	s_delay_alu instid0(VALU_DEP_3) | instskip(NEXT) | instid1(VALU_DEP_2)
	v_add_f64 v[28:29], v[28:29], v[42:43]
	v_add_f64 v[32:33], v[34:35], v[32:33]
	v_fma_f64 v[34:35], v[95:96], s[12:13], v[36:37]
	v_fma_f64 v[36:37], v[93:94], s[30:31], -v[38:39]
	v_fma_f64 v[38:39], v[141:142], s[4:5], v[157:158]
	v_add_f64 v[28:29], v[40:41], v[28:29]
	v_mul_f64 v[40:41], v[97:98], s[50:51]
	v_add_f64 v[34:35], v[34:35], v[52:53]
	v_add_f64 v[32:33], v[36:37], v[32:33]
	v_mul_f64 v[52:53], v[91:92], s[16:17]
	s_delay_alu instid0(VALU_DEP_4) | instskip(SKIP_1) | instid1(VALU_DEP_2)
	v_fma_f64 v[42:43], v[101:102], s[30:31], -v[40:41]
	v_fma_f64 v[36:37], v[101:102], s[30:31], v[40:41]
	v_add_f64 v[30:31], v[42:43], v[30:31]
	v_mul_f64 v[42:43], v[123:124], s[48:49]
	s_delay_alu instid0(VALU_DEP_3) | instskip(NEXT) | instid1(VALU_DEP_2)
	v_add_f64 v[34:35], v[36:37], v[34:35]
	v_fma_f64 v[50:51], v[103:104], s[22:23], v[42:43]
	v_fma_f64 v[36:37], v[103:104], s[22:23], -v[42:43]
	v_fma_f64 v[42:43], v[95:96], s[26:27], v[165:166]
	s_delay_alu instid0(VALU_DEP_3) | instskip(SKIP_1) | instid1(VALU_DEP_4)
	v_add_f64 v[28:29], v[50:51], v[28:29]
	v_mul_f64 v[50:51], v[109:110], s[48:49]
	v_add_f64 v[32:33], v[36:37], v[32:33]
	s_delay_alu instid0(VALU_DEP_4) | instskip(SKIP_1) | instid1(VALU_DEP_4)
	v_add_f64 v[42:43], v[42:43], v[58:59]
	v_mul_f64 v[58:59], v[111:112], s[10:11]
	v_fma_f64 v[62:63], v[105:106], s[22:23], -v[50:51]
	v_fma_f64 v[36:37], v[105:106], s[22:23], v[50:51]
	v_mul_f64 v[50:51], v[99:100], s[16:17]
	s_delay_alu instid0(VALU_DEP_3) | instskip(SKIP_1) | instid1(VALU_DEP_4)
	v_add_f64 v[30:31], v[62:63], v[30:31]
	v_mul_f64 v[62:63], v[131:132], s[16:17]
	v_add_f64 v[34:35], v[36:37], v[34:35]
	s_delay_alu instid0(VALU_DEP_2) | instskip(SKIP_2) | instid1(VALU_DEP_3)
	v_fma_f64 v[82:83], v[107:108], s[18:19], v[62:63]
	v_fma_f64 v[36:37], v[107:108], s[18:19], -v[62:63]
	v_mul_f64 v[62:63], v[111:112], s[34:35]
	v_add_f64 v[28:29], v[82:83], v[28:29]
	v_mul_f64 v[82:83], v[115:116], s[16:17]
	s_delay_alu instid0(VALU_DEP_4) | instskip(NEXT) | instid1(VALU_DEP_4)
	v_add_f64 v[32:33], v[36:37], v[32:33]
	v_fma_f64 v[40:41], v[93:94], s[20:21], v[62:63]
	s_delay_alu instid0(VALU_DEP_3) | instskip(SKIP_2) | instid1(VALU_DEP_3)
	v_fma_f64 v[113:114], v[117:118], s[18:19], -v[82:83]
	v_fma_f64 v[36:37], v[117:118], s[18:19], v[82:83]
	v_mul_f64 v[82:83], v[123:124], s[38:39]
	v_add_f64 v[30:31], v[113:114], v[30:31]
	v_mul_f64 v[113:114], v[139:140], s[56:57]
	s_delay_alu instid0(VALU_DEP_4) | instskip(NEXT) | instid1(VALU_DEP_2)
	v_add_f64 v[34:35], v[36:37], v[34:35]
	v_fma_f64 v[121:122], v[119:120], s[26:27], v[113:114]
	v_fma_f64 v[36:37], v[119:120], s[26:27], -v[113:114]
	v_mul_f64 v[113:114], v[109:110], s[38:39]
	s_delay_alu instid0(VALU_DEP_3) | instskip(SKIP_1) | instid1(VALU_DEP_4)
	v_add_f64 v[28:29], v[121:122], v[28:29]
	v_mul_f64 v[121:122], v[129:130], s[56:57]
	v_add_f64 v[32:33], v[36:37], v[32:33]
	s_delay_alu instid0(VALU_DEP_2) | instskip(SKIP_2) | instid1(VALU_DEP_3)
	v_fma_f64 v[149:150], v[125:126], s[26:27], -v[121:122]
	v_fma_f64 v[36:37], v[125:126], s[26:27], v[121:122]
	v_mul_f64 v[121:122], v[131:132], s[48:49]
	v_add_f64 v[30:31], v[149:150], v[30:31]
	v_mul_f64 v[149:150], v[145:146], s[44:45]
	s_delay_alu instid0(VALU_DEP_4) | instskip(NEXT) | instid1(VALU_DEP_2)
	v_add_f64 v[34:35], v[36:37], v[34:35]
	v_fma_f64 v[151:152], v[127:128], s[24:25], v[149:150]
	v_fma_f64 v[36:37], v[127:128], s[24:25], -v[149:150]
	v_mul_f64 v[149:150], v[115:116], s[48:49]
	s_delay_alu instid0(VALU_DEP_3) | instskip(SKIP_1) | instid1(VALU_DEP_4)
	v_add_f64 v[28:29], v[151:152], v[28:29]
	v_mul_f64 v[151:152], v[133:134], s[44:45]
	v_add_f64 v[32:33], v[36:37], v[32:33]
	s_delay_alu instid0(VALU_DEP_2) | instskip(SKIP_2) | instid1(VALU_DEP_3)
	v_fma_f64 v[36:37], v[135:136], s[24:25], v[151:152]
	v_fma_f64 v[153:154], v[135:136], s[24:25], -v[151:152]
	v_mul_f64 v[151:152], v[139:140], s[14:15]
	v_add_f64 v[36:37], v[36:37], v[34:35]
	v_fma_f64 v[34:35], v[137:138], s[4:5], -v[155:156]
	s_delay_alu instid0(VALU_DEP_4) | instskip(SKIP_2) | instid1(VALU_DEP_4)
	v_add_f64 v[153:154], v[153:154], v[30:31]
	v_fma_f64 v[30:31], v[137:138], s[4:5], v[155:156]
	v_mul_f64 v[155:156], v[145:146], s[54:55]
	v_add_f64 v[34:35], v[34:35], v[32:33]
	v_add_f64 v[32:33], v[38:39], v[36:37]
	v_fma_f64 v[36:37], v[89:90], s[18:19], v[50:51]
	v_fma_f64 v[38:39], v[95:96], s[18:19], -v[52:53]
	v_add_f64 v[30:31], v[30:31], v[28:29]
	v_fma_f64 v[28:29], v[141:142], s[4:5], -v[157:158]
	v_mul_f64 v[157:158], v[133:134], s[54:55]
	v_add_f64 v[36:37], v[36:37], v[44:45]
	v_add_f64 v[38:39], v[38:39], v[64:65]
	v_mul_f64 v[64:65], v[97:98], s[34:35]
	v_add_f64 v[28:29], v[28:29], v[153:154]
	v_mul_f64 v[153:154], v[129:130], s[14:15]
	v_fma_f64 v[44:45], v[93:94], s[4:5], -v[58:59]
	v_fma_f64 v[58:59], v[93:94], s[4:5], v[58:59]
	v_add_f64 v[36:37], v[40:41], v[36:37]
	v_fma_f64 v[40:41], v[101:102], s[20:21], -v[64:65]
	s_delay_alu instid0(VALU_DEP_1) | instskip(SKIP_1) | instid1(VALU_DEP_1)
	v_add_f64 v[38:39], v[40:41], v[38:39]
	v_fma_f64 v[40:41], v[103:104], s[24:25], v[82:83]
	v_add_f64 v[36:37], v[40:41], v[36:37]
	v_fma_f64 v[40:41], v[105:106], s[24:25], -v[113:114]
	s_delay_alu instid0(VALU_DEP_1) | instskip(SKIP_1) | instid1(VALU_DEP_1)
	v_add_f64 v[38:39], v[40:41], v[38:39]
	;; [unrolled: 5-line block ×6, first 2 shown]
	v_fma_f64 v[40:41], v[89:90], s[26:27], -v[163:164]
	v_add_f64 v[40:41], v[40:41], v[48:49]
	s_delay_alu instid0(VALU_DEP_1) | instskip(SKIP_1) | instid1(VALU_DEP_1)
	v_add_f64 v[40:41], v[44:45], v[40:41]
	v_fma_f64 v[44:45], v[101:102], s[4:5], v[167:168]
	v_add_f64 v[42:43], v[44:45], v[42:43]
	v_fma_f64 v[44:45], v[103:104], s[18:19], -v[169:170]
	s_delay_alu instid0(VALU_DEP_1) | instskip(SKIP_1) | instid1(VALU_DEP_1)
	v_add_f64 v[40:41], v[44:45], v[40:41]
	v_fma_f64 v[44:45], v[105:106], s[18:19], v[171:172]
	v_add_f64 v[42:43], v[44:45], v[42:43]
	v_fma_f64 v[44:45], v[107:108], s[12:13], -v[173:174]
	;; [unrolled: 5-line block ×6, first 2 shown]
	s_delay_alu instid0(VALU_DEP_1) | instskip(SKIP_1) | instid1(VALU_DEP_1)
	v_add_f64 v[44:45], v[44:45], v[46:47]
	v_fma_f64 v[46:47], v[95:96], s[4:5], v[191:192]
	v_add_f64 v[46:47], v[46:47], v[56:57]
	v_mul_f64 v[56:57], v[111:112], s[36:37]
	s_delay_alu instid0(VALU_DEP_1) | instskip(SKIP_1) | instid1(VALU_DEP_2)
	v_fma_f64 v[48:49], v[93:94], s[18:19], -v[56:57]
	v_fma_f64 v[56:57], v[93:94], s[18:19], v[56:57]
	v_add_f64 v[44:45], v[48:49], v[44:45]
	v_fma_f64 v[48:49], v[101:102], s[18:19], v[193:194]
	s_delay_alu instid0(VALU_DEP_1) | instskip(SKIP_1) | instid1(VALU_DEP_1)
	v_add_f64 v[46:47], v[48:49], v[46:47]
	v_fma_f64 v[48:49], v[103:104], s[20:21], -v[195:196]
	v_add_f64 v[44:45], v[48:49], v[44:45]
	v_fma_f64 v[48:49], v[105:106], s[20:21], v[197:198]
	s_delay_alu instid0(VALU_DEP_1) | instskip(SKIP_1) | instid1(VALU_DEP_1)
	v_add_f64 v[46:47], v[48:49], v[46:47]
	v_fma_f64 v[48:49], v[107:108], s[30:31], -v[199:200]
	;; [unrolled: 5-line block ×5, first 2 shown]
	v_add_f64 v[46:47], v[46:47], v[44:45]
	v_fma_f64 v[44:45], v[141:142], s[12:13], v[213:214]
	s_delay_alu instid0(VALU_DEP_1) | instskip(SKIP_4) | instid1(VALU_DEP_4)
	v_add_f64 v[44:45], v[44:45], v[48:49]
	v_fma_f64 v[48:49], v[89:90], s[18:19], -v[50:51]
	v_fma_f64 v[50:51], v[95:96], s[18:19], v[52:53]
	v_fma_f64 v[52:53], v[93:94], s[20:21], -v[62:63]
	v_fma_f64 v[62:63], v[141:142], s[12:13], -v[213:214]
	v_add_f64 v[48:49], v[48:49], v[72:73]
	s_delay_alu instid0(VALU_DEP_4) | instskip(SKIP_1) | instid1(VALU_DEP_3)
	v_add_f64 v[50:51], v[50:51], v[54:55]
	v_fma_f64 v[54:55], v[141:142], s[30:31], v[161:162]
	v_add_f64 v[48:49], v[52:53], v[48:49]
	v_fma_f64 v[52:53], v[101:102], s[20:21], v[64:65]
	v_fma_f64 v[64:65], v[141:142], s[24:25], -v[187:188]
	s_delay_alu instid0(VALU_DEP_2) | instskip(SKIP_1) | instid1(VALU_DEP_1)
	v_add_f64 v[50:51], v[52:53], v[50:51]
	v_fma_f64 v[52:53], v[103:104], s[24:25], -v[82:83]
	v_add_f64 v[48:49], v[52:53], v[48:49]
	v_fma_f64 v[52:53], v[105:106], s[24:25], v[113:114]
	v_mul_f64 v[113:114], v[143:144], s[16:17]
	s_delay_alu instid0(VALU_DEP_2) | instskip(SKIP_1) | instid1(VALU_DEP_1)
	v_add_f64 v[50:51], v[52:53], v[50:51]
	v_fma_f64 v[52:53], v[107:108], s[22:23], -v[121:122]
	v_add_f64 v[48:49], v[52:53], v[48:49]
	v_fma_f64 v[52:53], v[117:118], s[22:23], v[149:150]
	s_delay_alu instid0(VALU_DEP_1) | instskip(SKIP_1) | instid1(VALU_DEP_1)
	v_add_f64 v[50:51], v[52:53], v[50:51]
	v_fma_f64 v[52:53], v[119:120], s[12:13], -v[151:152]
	v_add_f64 v[48:49], v[52:53], v[48:49]
	v_fma_f64 v[52:53], v[125:126], s[12:13], v[153:154]
	s_delay_alu instid0(VALU_DEP_1) | instskip(SKIP_1) | instid1(VALU_DEP_1)
	;; [unrolled: 5-line block ×3, first 2 shown]
	v_add_f64 v[52:53], v[52:53], v[50:51]
	v_fma_f64 v[50:51], v[137:138], s[30:31], -v[159:160]
	v_add_f64 v[50:51], v[50:51], v[48:49]
	s_delay_alu instid0(VALU_DEP_3) | instskip(SKIP_2) | instid1(VALU_DEP_2)
	v_add_f64 v[48:49], v[54:55], v[52:53]
	v_fma_f64 v[52:53], v[89:90], s[4:5], v[189:190]
	v_fma_f64 v[54:55], v[95:96], s[4:5], -v[191:192]
	v_add_f64 v[52:53], v[52:53], v[74:75]
	s_delay_alu instid0(VALU_DEP_2) | instskip(SKIP_1) | instid1(VALU_DEP_3)
	v_add_f64 v[54:55], v[54:55], v[66:67]
	v_mul_f64 v[66:67], v[91:92], s[42:43]
	v_add_f64 v[52:53], v[56:57], v[52:53]
	v_fma_f64 v[56:57], v[101:102], s[18:19], -v[193:194]
	s_delay_alu instid0(VALU_DEP_1) | instskip(SKIP_1) | instid1(VALU_DEP_1)
	v_add_f64 v[54:55], v[56:57], v[54:55]
	v_fma_f64 v[56:57], v[103:104], s[20:21], v[195:196]
	v_add_f64 v[52:53], v[56:57], v[52:53]
	v_fma_f64 v[56:57], v[105:106], s[20:21], -v[197:198]
	s_delay_alu instid0(VALU_DEP_1) | instskip(SKIP_1) | instid1(VALU_DEP_1)
	v_add_f64 v[54:55], v[56:57], v[54:55]
	v_fma_f64 v[56:57], v[107:108], s[30:31], v[199:200]
	;; [unrolled: 5-line block ×5, first 2 shown]
	v_add_f64 v[54:55], v[54:55], v[52:53]
	s_delay_alu instid0(VALU_DEP_3) | instskip(SKIP_2) | instid1(VALU_DEP_2)
	v_add_f64 v[52:53], v[62:63], v[56:57]
	v_fma_f64 v[56:57], v[89:90], s[26:27], v[163:164]
	v_fma_f64 v[62:63], v[95:96], s[26:27], -v[165:166]
	v_add_f64 v[56:57], v[56:57], v[76:77]
	s_delay_alu instid0(VALU_DEP_2) | instskip(SKIP_2) | instid1(VALU_DEP_4)
	v_add_f64 v[62:63], v[62:63], v[68:69]
	v_fma_f64 v[68:69], v[95:96], s[30:31], v[66:67]
	v_fma_f64 v[66:67], v[95:96], s[30:31], -v[66:67]
	v_add_f64 v[56:57], v[58:59], v[56:57]
	v_fma_f64 v[58:59], v[101:102], s[4:5], -v[167:168]
	s_delay_alu instid0(VALU_DEP_4) | instskip(SKIP_2) | instid1(VALU_DEP_4)
	v_add_f64 v[60:61], v[68:69], v[60:61]
	v_mul_f64 v[68:69], v[111:112], s[48:49]
	v_add_f64 v[66:67], v[66:67], v[70:71]
	v_add_f64 v[58:59], v[58:59], v[62:63]
	v_fma_f64 v[62:63], v[103:104], s[18:19], v[169:170]
	s_delay_alu instid0(VALU_DEP_4) | instskip(SKIP_1) | instid1(VALU_DEP_3)
	v_fma_f64 v[72:73], v[93:94], s[22:23], -v[68:69]
	v_fma_f64 v[68:69], v[93:94], s[22:23], v[68:69]
	v_add_f64 v[56:57], v[62:63], v[56:57]
	v_fma_f64 v[62:63], v[105:106], s[18:19], -v[171:172]
	s_delay_alu instid0(VALU_DEP_1) | instskip(SKIP_1) | instid1(VALU_DEP_1)
	v_add_f64 v[58:59], v[62:63], v[58:59]
	v_fma_f64 v[62:63], v[107:108], s[12:13], v[173:174]
	v_add_f64 v[56:57], v[62:63], v[56:57]
	v_fma_f64 v[62:63], v[117:118], s[12:13], -v[175:176]
	s_delay_alu instid0(VALU_DEP_1) | instskip(SKIP_1) | instid1(VALU_DEP_1)
	v_add_f64 v[58:59], v[62:63], v[58:59]
	;; [unrolled: 5-line block ×4, first 2 shown]
	v_fma_f64 v[58:59], v[137:138], s[24:25], v[185:186]
	v_add_f64 v[58:59], v[58:59], v[56:57]
	s_delay_alu instid0(VALU_DEP_3) | instskip(SKIP_1) | instid1(VALU_DEP_1)
	v_add_f64 v[56:57], v[64:65], v[62:63]
	v_mul_f64 v[64:65], v[99:100], s[42:43]
	v_fma_f64 v[62:63], v[89:90], s[30:31], -v[64:65]
	v_fma_f64 v[64:65], v[89:90], s[30:31], v[64:65]
	s_delay_alu instid0(VALU_DEP_2) | instskip(NEXT) | instid1(VALU_DEP_2)
	v_add_f64 v[62:63], v[62:63], v[80:81]
	v_add_f64 v[64:65], v[64:65], v[78:79]
	s_delay_alu instid0(VALU_DEP_2) | instskip(SKIP_1) | instid1(VALU_DEP_3)
	v_add_f64 v[62:63], v[72:73], v[62:63]
	v_mul_f64 v[72:73], v[97:98], s[48:49]
	v_add_f64 v[64:65], v[68:69], v[64:65]
	s_delay_alu instid0(VALU_DEP_2) | instskip(SKIP_1) | instid1(VALU_DEP_2)
	v_fma_f64 v[74:75], v[101:102], s[22:23], v[72:73]
	v_fma_f64 v[72:73], v[101:102], s[22:23], -v[72:73]
	v_add_f64 v[60:61], v[74:75], v[60:61]
	v_mul_f64 v[74:75], v[123:124], s[28:29]
	s_delay_alu instid0(VALU_DEP_3) | instskip(NEXT) | instid1(VALU_DEP_2)
	v_add_f64 v[66:67], v[72:73], v[66:67]
	v_fma_f64 v[76:77], v[103:104], s[26:27], -v[74:75]
	v_fma_f64 v[70:71], v[103:104], s[26:27], v[74:75]
	s_delay_alu instid0(VALU_DEP_2) | instskip(SKIP_1) | instid1(VALU_DEP_3)
	v_add_f64 v[62:63], v[76:77], v[62:63]
	v_mul_f64 v[76:77], v[109:110], s[28:29]
	v_add_f64 v[64:65], v[70:71], v[64:65]
	s_delay_alu instid0(VALU_DEP_2) | instskip(SKIP_1) | instid1(VALU_DEP_2)
	v_fma_f64 v[80:81], v[105:106], s[26:27], v[76:77]
	v_fma_f64 v[74:75], v[105:106], s[26:27], -v[76:77]
	v_add_f64 v[60:61], v[80:81], v[60:61]
	v_mul_f64 v[80:81], v[131:132], s[46:47]
	s_delay_alu instid0(VALU_DEP_3) | instskip(NEXT) | instid1(VALU_DEP_2)
	v_add_f64 v[66:67], v[74:75], v[66:67]
	v_fma_f64 v[82:83], v[107:108], s[20:21], -v[80:81]
	v_fma_f64 v[68:69], v[107:108], s[20:21], v[80:81]
	s_delay_alu instid0(VALU_DEP_2) | instskip(SKIP_1) | instid1(VALU_DEP_3)
	v_add_f64 v[62:63], v[82:83], v[62:63]
	v_mul_f64 v[82:83], v[115:116], s[46:47]
	v_add_f64 v[64:65], v[68:69], v[64:65]
	s_delay_alu instid0(VALU_DEP_2) | instskip(SKIP_1) | instid1(VALU_DEP_2)
	v_fma_f64 v[91:92], v[117:118], s[20:21], v[82:83]
	v_fma_f64 v[72:73], v[117:118], s[20:21], -v[82:83]
	v_add_f64 v[60:61], v[91:92], v[60:61]
	v_mul_f64 v[91:92], v[139:140], s[10:11]
	s_delay_alu instid0(VALU_DEP_3) | instskip(NEXT) | instid1(VALU_DEP_2)
	v_add_f64 v[66:67], v[72:73], v[66:67]
	v_fma_f64 v[97:98], v[119:120], s[4:5], -v[91:92]
	v_fma_f64 v[70:71], v[119:120], s[4:5], v[91:92]
	s_delay_alu instid0(VALU_DEP_2) | instskip(SKIP_1) | instid1(VALU_DEP_3)
	v_add_f64 v[62:63], v[97:98], v[62:63]
	v_mul_f64 v[97:98], v[129:130], s[10:11]
	v_add_f64 v[64:65], v[70:71], v[64:65]
	s_delay_alu instid0(VALU_DEP_2) | instskip(SKIP_1) | instid1(VALU_DEP_2)
	v_fma_f64 v[99:100], v[125:126], s[4:5], v[97:98]
	v_fma_f64 v[74:75], v[125:126], s[4:5], -v[97:98]
	v_add_f64 v[60:61], v[99:100], v[60:61]
	v_mul_f64 v[99:100], v[145:146], s[14:15]
	s_delay_alu instid0(VALU_DEP_3) | instskip(SKIP_1) | instid1(VALU_DEP_3)
	v_add_f64 v[66:67], v[74:75], v[66:67]
	v_fma_f64 v[74:75], v[141:142], s[18:19], -v[113:114]
	v_fma_f64 v[109:110], v[127:128], s[12:13], -v[99:100]
	v_fma_f64 v[68:69], v[127:128], s[12:13], v[99:100]
	s_delay_alu instid0(VALU_DEP_2) | instskip(SKIP_1) | instid1(VALU_DEP_3)
	v_add_f64 v[62:63], v[109:110], v[62:63]
	v_mul_f64 v[109:110], v[133:134], s[14:15]
	v_add_f64 v[64:65], v[68:69], v[64:65]
	s_delay_alu instid0(VALU_DEP_2) | instskip(SKIP_1) | instid1(VALU_DEP_2)
	v_fma_f64 v[111:112], v[135:136], s[12:13], v[109:110]
	v_fma_f64 v[72:73], v[135:136], s[12:13], -v[109:110]
	v_add_f64 v[60:61], v[111:112], v[60:61]
	v_mul_f64 v[111:112], v[147:148], s[16:17]
	s_delay_alu instid0(VALU_DEP_3) | instskip(NEXT) | instid1(VALU_DEP_2)
	v_add_f64 v[68:69], v[72:73], v[66:67]
	v_fma_f64 v[115:116], v[137:138], s[18:19], -v[111:112]
	v_fma_f64 v[70:71], v[137:138], s[18:19], v[111:112]
	s_delay_alu instid0(VALU_DEP_2) | instskip(SKIP_1) | instid1(VALU_DEP_3)
	v_add_f64 v[62:63], v[115:116], v[62:63]
	v_fma_f64 v[115:116], v[141:142], s[18:19], v[113:114]
	v_add_f64 v[66:67], v[70:71], v[64:65]
	v_add_f64 v[64:65], v[74:75], v[68:69]
	v_mul_u32_u24_e32 v68, 0x110, v88
	s_delay_alu instid0(VALU_DEP_1)
	v_add3_u32 v68, 0, v68, v220
	v_add_f64 v[60:61], v[115:116], v[60:61]
	ds_store_b128 v68, v[40:43] offset:32
	ds_store_b128 v68, v[44:47] offset:48
	;; [unrolled: 1-line block ×15, first 2 shown]
	ds_store_b128 v68, v[16:19]
	ds_store_b128 v68, v[64:67] offset:256
.LBB0_20:
	s_or_b32 exec_lo, exec_lo, s1
	s_waitcnt lgkmcnt(0)
	s_barrier
	buffer_gl0_inv
	ds_load_b128 v[16:19], v218
	ds_load_b128 v[20:23], v219 offset:1088
	ds_load_b128 v[36:39], v219 offset:2720
	;; [unrolled: 1-line block ×7, first 2 shown]
	v_cmp_gt_u32_e64 s0, 34, v88
	s_delay_alu instid0(VALU_DEP_1)
	s_and_saveexec_b32 s1, s0
	s_cbranch_execz .LBB0_22
; %bb.21:
	ds_load_b128 v[0:3], v219 offset:2176
	ds_load_b128 v[4:7], v219 offset:4896
	;; [unrolled: 1-line block ×4, first 2 shown]
.LBB0_22:
	s_or_b32 exec_lo, exec_lo, s1
	v_and_b32_e32 v48, 0xff, v88
	v_add_nc_u16 v49, v88, 0x44
	s_delay_alu instid0(VALU_DEP_2) | instskip(NEXT) | instid1(VALU_DEP_2)
	v_mul_lo_u16 v48, 0xf1, v48
	v_and_b32_e32 v50, 0xff, v49
	s_delay_alu instid0(VALU_DEP_2) | instskip(NEXT) | instid1(VALU_DEP_2)
	v_lshrrev_b16 v89, 12, v48
	v_mul_lo_u16 v48, 0xf1, v50
	s_delay_alu instid0(VALU_DEP_2) | instskip(NEXT) | instid1(VALU_DEP_2)
	v_mul_lo_u16 v50, v89, 17
	v_lshrrev_b16 v90, 12, v48
	s_delay_alu instid0(VALU_DEP_2) | instskip(NEXT) | instid1(VALU_DEP_2)
	v_sub_nc_u16 v48, v88, v50
	v_mul_lo_u16 v50, v90, 17
	s_delay_alu instid0(VALU_DEP_2) | instskip(NEXT) | instid1(VALU_DEP_2)
	v_and_b32_e32 v91, 0xff, v48
	v_sub_nc_u16 v48, v49, v50
	s_delay_alu instid0(VALU_DEP_2) | instskip(NEXT) | instid1(VALU_DEP_2)
	v_mul_u32_u24_e32 v49, 3, v91
	v_and_b32_e32 v92, 0xff, v48
	s_delay_alu instid0(VALU_DEP_2) | instskip(NEXT) | instid1(VALU_DEP_2)
	v_lshlrev_b32_e32 v56, 4, v49
	v_mul_u32_u24_e32 v52, 3, v92
	global_load_b128 v[48:51], v56, s[8:9]
	v_lshlrev_b32_e32 v68, 4, v52
	s_clause 0x4
	global_load_b128 v[52:55], v56, s[8:9] offset:16
	global_load_b128 v[56:59], v56, s[8:9] offset:32
	global_load_b128 v[60:63], v68, s[8:9]
	global_load_b128 v[64:67], v68, s[8:9] offset:16
	global_load_b128 v[68:71], v68, s[8:9] offset:32
	s_waitcnt vmcnt(0) lgkmcnt(0)
	s_barrier
	buffer_gl0_inv
	v_mul_f64 v[74:75], v[42:43], v[54:55]
	v_mul_f64 v[72:73], v[38:39], v[50:51]
	;; [unrolled: 1-line block ×12, first 2 shown]
	v_fma_f64 v[40:41], v[40:41], v[52:53], v[74:75]
	v_fma_f64 v[36:37], v[36:37], v[48:49], v[72:73]
	v_fma_f64 v[38:39], v[38:39], v[48:49], -v[50:51]
	v_fma_f64 v[42:43], v[42:43], v[52:53], -v[54:55]
	v_fma_f64 v[44:45], v[44:45], v[56:57], v[76:77]
	v_fma_f64 v[46:47], v[46:47], v[56:57], -v[58:59]
	v_fma_f64 v[24:25], v[24:25], v[60:61], v[78:79]
	;; [unrolled: 2-line block ×4, first 2 shown]
	v_fma_f64 v[34:35], v[34:35], v[68:69], -v[70:71]
	v_add_f64 v[40:41], v[16:17], -v[40:41]
	v_add_f64 v[42:43], v[18:19], -v[42:43]
	;; [unrolled: 1-line block ×8, first 2 shown]
	v_fma_f64 v[52:53], v[16:17], 2.0, -v[40:41]
	v_fma_f64 v[54:55], v[18:19], 2.0, -v[42:43]
	;; [unrolled: 1-line block ×4, first 2 shown]
	v_add_f64 v[16:17], v[40:41], v[46:47]
	v_add_f64 v[18:19], v[42:43], -v[44:45]
	v_fma_f64 v[38:39], v[20:21], 2.0, -v[48:49]
	v_fma_f64 v[56:57], v[22:23], 2.0, -v[50:51]
	;; [unrolled: 1-line block ×4, first 2 shown]
	v_add_f64 v[20:21], v[48:49], v[28:29]
	v_add_f64 v[24:25], v[52:53], -v[30:31]
	v_add_f64 v[26:27], v[54:55], -v[34:35]
	v_fma_f64 v[34:35], v[42:43], 2.0, -v[18:19]
	v_add_f64 v[28:29], v[38:39], -v[22:23]
	v_add_f64 v[30:31], v[56:57], -v[36:37]
	;; [unrolled: 1-line block ×3, first 2 shown]
	v_fma_f64 v[32:33], v[40:41], 2.0, -v[16:17]
	v_fma_f64 v[36:37], v[48:49], 2.0, -v[20:21]
	v_and_b32_e32 v48, 0xffff, v89
	v_and_b32_e32 v49, 0xffff, v90
	s_delay_alu instid0(VALU_DEP_2) | instskip(NEXT) | instid1(VALU_DEP_2)
	v_mad_u32_u24 v48, 0x440, v48, 0
	v_mad_u32_u24 v49, 0x440, v49, 0
	v_fma_f64 v[40:41], v[52:53], 2.0, -v[24:25]
	v_fma_f64 v[42:43], v[54:55], 2.0, -v[26:27]
	;; [unrolled: 1-line block ×5, first 2 shown]
	v_lshlrev_b32_e32 v50, 4, v91
	v_lshlrev_b32_e32 v51, 4, v92
	s_delay_alu instid0(VALU_DEP_2) | instskip(NEXT) | instid1(VALU_DEP_2)
	v_add3_u32 v48, v48, v50, v220
	v_add3_u32 v49, v49, v51, v220
	ds_store_b128 v48, v[24:27] offset:544
	ds_store_b128 v48, v[16:19] offset:816
	ds_store_b128 v48, v[40:43]
	ds_store_b128 v48, v[32:35] offset:272
	ds_store_b128 v49, v[44:47]
	ds_store_b128 v49, v[36:39] offset:272
	ds_store_b128 v49, v[28:31] offset:544
	;; [unrolled: 1-line block ×3, first 2 shown]
	s_and_saveexec_b32 s1, s0
	s_cbranch_execz .LBB0_24
; %bb.23:
	v_add_nc_u16 v16, v88, 0x88
	s_delay_alu instid0(VALU_DEP_1) | instskip(NEXT) | instid1(VALU_DEP_1)
	v_and_b32_e32 v17, 0xff, v16
	v_mul_lo_u16 v17, 0xf1, v17
	s_delay_alu instid0(VALU_DEP_1) | instskip(NEXT) | instid1(VALU_DEP_1)
	v_lshrrev_b16 v34, 12, v17
	v_mul_lo_u16 v17, v34, 17
	s_delay_alu instid0(VALU_DEP_1) | instskip(NEXT) | instid1(VALU_DEP_1)
	v_sub_nc_u16 v16, v16, v17
	v_and_b32_e32 v35, 0xff, v16
	s_delay_alu instid0(VALU_DEP_1) | instskip(NEXT) | instid1(VALU_DEP_1)
	v_mul_u32_u24_e32 v16, 3, v35
	v_lshlrev_b32_e32 v24, 4, v16
	s_clause 0x2
	global_load_b128 v[16:19], v24, s[8:9] offset:16
	global_load_b128 v[20:23], v24, s[8:9]
	global_load_b128 v[24:27], v24, s[8:9] offset:32
	s_waitcnt vmcnt(2)
	v_mul_f64 v[28:29], v[8:9], v[18:19]
	s_waitcnt vmcnt(1)
	v_mul_f64 v[30:31], v[6:7], v[22:23]
	v_mul_f64 v[22:23], v[4:5], v[22:23]
	s_waitcnt vmcnt(0)
	v_mul_f64 v[32:33], v[12:13], v[26:27]
	v_mul_f64 v[18:19], v[10:11], v[18:19]
	;; [unrolled: 1-line block ×3, first 2 shown]
	v_fma_f64 v[10:11], v[10:11], v[16:17], -v[28:29]
	v_fma_f64 v[4:5], v[4:5], v[20:21], v[30:31]
	v_fma_f64 v[6:7], v[6:7], v[20:21], -v[22:23]
	v_fma_f64 v[14:15], v[14:15], v[24:25], -v[32:33]
	v_fma_f64 v[8:9], v[8:9], v[16:17], v[18:19]
	v_fma_f64 v[12:13], v[12:13], v[24:25], v[26:27]
	v_add_f64 v[10:11], v[2:3], -v[10:11]
	s_delay_alu instid0(VALU_DEP_4) | instskip(NEXT) | instid1(VALU_DEP_4)
	v_add_f64 v[14:15], v[6:7], -v[14:15]
	v_add_f64 v[8:9], v[0:1], -v[8:9]
	s_delay_alu instid0(VALU_DEP_4) | instskip(NEXT) | instid1(VALU_DEP_4)
	v_add_f64 v[12:13], v[4:5], -v[12:13]
	v_fma_f64 v[16:17], v[2:3], 2.0, -v[10:11]
	s_delay_alu instid0(VALU_DEP_4) | instskip(NEXT) | instid1(VALU_DEP_4)
	v_fma_f64 v[6:7], v[6:7], 2.0, -v[14:15]
	v_fma_f64 v[18:19], v[0:1], 2.0, -v[8:9]
	s_delay_alu instid0(VALU_DEP_4) | instskip(SKIP_1) | instid1(VALU_DEP_4)
	v_fma_f64 v[0:1], v[4:5], 2.0, -v[12:13]
	v_add_f64 v[2:3], v[10:11], -v[12:13]
	v_add_f64 v[6:7], v[16:17], -v[6:7]
	s_delay_alu instid0(VALU_DEP_3) | instskip(SKIP_1) | instid1(VALU_DEP_4)
	v_add_f64 v[4:5], v[18:19], -v[0:1]
	v_add_f64 v[0:1], v[8:9], v[14:15]
	v_fma_f64 v[10:11], v[10:11], 2.0, -v[2:3]
	s_delay_alu instid0(VALU_DEP_4) | instskip(SKIP_4) | instid1(VALU_DEP_4)
	v_fma_f64 v[14:15], v[16:17], 2.0, -v[6:7]
	v_and_b32_e32 v16, 0xffff, v34
	v_fma_f64 v[12:13], v[18:19], 2.0, -v[4:5]
	v_fma_f64 v[8:9], v[8:9], 2.0, -v[0:1]
	v_lshlrev_b32_e32 v17, 4, v35
	v_mad_u32_u24 v16, 0x440, v16, 0
	s_delay_alu instid0(VALU_DEP_1)
	v_add3_u32 v16, v16, v17, v220
	ds_store_b128 v16, v[12:15]
	ds_store_b128 v16, v[8:11] offset:272
	ds_store_b128 v16, v[4:7] offset:544
	;; [unrolled: 1-line block ×3, first 2 shown]
.LBB0_24:
	s_or_b32 exec_lo, exec_lo, s1
	v_mul_u32_u24_e32 v0, 9, v88
	s_waitcnt lgkmcnt(0)
	s_barrier
	buffer_gl0_inv
	s_mov_b32 s1, 0x3fee6f0e
	v_lshlrev_b32_e32 v32, 4, v0
	s_mov_b32 s12, 0x4755a5e
	s_mov_b32 s13, 0xbfe2cf23
	;; [unrolled: 1-line block ×4, first 2 shown]
	s_clause 0x8
	global_load_b128 v[0:3], v32, s[8:9] offset:848
	global_load_b128 v[4:7], v32, s[8:9] offset:880
	;; [unrolled: 1-line block ×9, first 2 shown]
	ds_load_b128 v[36:39], v219 offset:3264
	ds_load_b128 v[40:43], v219 offset:5440
	;; [unrolled: 1-line block ×6, first 2 shown]
	s_mov_b32 s8, 0x134454ff
	s_mov_b32 s9, 0xbfee6f0e
	;; [unrolled: 1-line block ×11, first 2 shown]
	s_waitcnt vmcnt(8) lgkmcnt(5)
	v_mul_f64 v[60:61], v[36:37], v[2:3]
	s_waitcnt vmcnt(7) lgkmcnt(4)
	v_mul_f64 v[62:63], v[40:41], v[6:7]
	;; [unrolled: 2-line block ×5, first 2 shown]
	v_mul_f64 v[2:3], v[38:39], v[2:3]
	v_mul_f64 v[6:7], v[42:43], v[6:7]
	;; [unrolled: 1-line block ×4, first 2 shown]
	s_waitcnt vmcnt(3) lgkmcnt(0)
	v_mul_f64 v[74:75], v[58:59], v[22:23]
	v_mul_f64 v[22:23], v[56:57], v[22:23]
	;; [unrolled: 1-line block ×3, first 2 shown]
	v_fma_f64 v[38:39], v[38:39], v[0:1], -v[60:61]
	v_fma_f64 v[42:43], v[42:43], v[4:5], -v[62:63]
	;; [unrolled: 1-line block ×4, first 2 shown]
	ds_load_b128 v[60:63], v219 offset:4352
	ds_load_b128 v[64:67], v219 offset:6528
	;; [unrolled: 1-line block ×3, first 2 shown]
	v_fma_f64 v[36:37], v[36:37], v[0:1], v[2:3]
	v_fma_f64 v[4:5], v[40:41], v[4:5], v[6:7]
	;; [unrolled: 1-line block ×4, first 2 shown]
	v_fma_f64 v[10:11], v[54:55], v[16:17], -v[72:73]
	v_fma_f64 v[12:13], v[56:57], v[20:21], v[74:75]
	v_fma_f64 v[14:15], v[58:59], v[20:21], -v[22:23]
	v_fma_f64 v[16:17], v[52:53], v[16:17], v[18:19]
	s_waitcnt vmcnt(2) lgkmcnt(2)
	v_mul_f64 v[76:77], v[62:63], v[26:27]
	v_mul_f64 v[26:27], v[60:61], v[26:27]
	s_waitcnt vmcnt(1) lgkmcnt(1)
	v_mul_f64 v[78:79], v[66:67], v[30:31]
	s_waitcnt vmcnt(0) lgkmcnt(0)
	v_mul_f64 v[80:81], v[70:71], v[34:35]
	v_mul_f64 v[30:31], v[64:65], v[30:31]
	;; [unrolled: 1-line block ×3, first 2 shown]
	v_add_f64 v[0:1], v[42:43], v[46:47]
	v_add_f64 v[2:3], v[38:39], v[50:51]
	v_add_f64 v[89:90], v[36:37], -v[4:5]
	v_add_f64 v[18:19], v[4:5], v[6:7]
	v_add_f64 v[40:41], v[4:5], -v[6:7]
	v_add_f64 v[91:92], v[8:9], -v[6:7]
	;; [unrolled: 1-line block ×3, first 2 shown]
	v_fma_f64 v[20:21], v[60:61], v[24:25], v[76:77]
	v_fma_f64 v[22:23], v[62:63], v[24:25], -v[26:27]
	v_fma_f64 v[24:25], v[64:65], v[28:29], v[78:79]
	v_fma_f64 v[26:27], v[68:69], v[32:33], v[80:81]
	v_fma_f64 v[28:29], v[66:67], v[28:29], -v[30:31]
	v_fma_f64 v[30:31], v[70:71], v[32:33], -v[34:35]
	v_add_f64 v[32:33], v[36:37], v[8:9]
	v_add_f64 v[34:35], v[36:37], -v[8:9]
	v_add_f64 v[60:61], v[38:39], -v[50:51]
	;; [unrolled: 1-line block ×7, first 2 shown]
	v_fma_f64 v[44:45], v[0:1], -0.5, v[10:11]
	v_fma_f64 v[48:49], v[2:3], -0.5, v[10:11]
	ds_load_b128 v[0:3], v218
	v_add_f64 v[10:11], v[10:11], v[38:39]
	s_waitcnt lgkmcnt(0)
	v_fma_f64 v[18:19], v[18:19], -0.5, v[16:17]
	s_barrier
	buffer_gl0_inv
	v_add_f64 v[95:96], v[14:15], -v[22:23]
	v_add_f64 v[52:53], v[20:21], v[24:25]
	v_add_f64 v[54:55], v[12:13], v[26:27]
	;; [unrolled: 1-line block ×4, first 2 shown]
	v_fma_f64 v[32:33], v[32:33], -0.5, v[16:17]
	v_add_f64 v[76:77], v[0:1], v[12:13]
	v_add_f64 v[82:83], v[2:3], v[14:15]
	;; [unrolled: 1-line block ×3, first 2 shown]
	v_add_f64 v[78:79], v[14:15], -v[30:31]
	v_add_f64 v[36:37], v[4:5], -v[36:37]
	v_add_f64 v[80:81], v[22:23], -v[28:29]
	v_add_f64 v[14:15], v[22:23], -v[14:15]
	v_add_f64 v[97:98], v[30:31], -v[28:29]
	v_add_f64 v[99:100], v[28:29], -v[30:31]
	v_fma_f64 v[72:73], v[34:35], s[0:1], v[44:45]
	v_fma_f64 v[74:75], v[40:41], s[8:9], v[48:49]
	;; [unrolled: 1-line block ×4, first 2 shown]
	v_add_f64 v[10:11], v[10:11], v[42:43]
	v_fma_f64 v[38:39], v[52:53], -0.5, v[0:1]
	v_add_f64 v[52:53], v[12:13], -v[26:27]
	v_fma_f64 v[0:1], v[54:55], -0.5, v[0:1]
	v_add_f64 v[54:55], v[20:21], -v[24:25]
	v_fma_f64 v[56:57], v[56:57], -0.5, v[2:3]
	v_fma_f64 v[2:3], v[58:59], -0.5, v[2:3]
	v_add_f64 v[58:59], v[62:63], v[64:65]
	v_add_f64 v[62:63], v[66:67], v[68:69]
	v_fma_f64 v[64:65], v[60:61], s[8:9], v[18:19]
	v_fma_f64 v[18:19], v[60:61], s[0:1], v[18:19]
	;; [unrolled: 1-line block ×4, first 2 shown]
	v_add_f64 v[22:23], v[82:83], v[22:23]
	v_add_f64 v[4:5], v[16:17], v[4:5]
	;; [unrolled: 1-line block ×4, first 2 shown]
	v_fma_f64 v[68:69], v[40:41], s[4:5], v[72:73]
	v_fma_f64 v[72:73], v[34:35], s[4:5], v[74:75]
	;; [unrolled: 1-line block ×4, first 2 shown]
	v_add_f64 v[44:45], v[12:13], -v[20:21]
	v_add_f64 v[12:13], v[20:21], -v[12:13]
	v_add_f64 v[20:21], v[76:77], v[20:21]
	v_add_f64 v[48:49], v[26:27], -v[24:25]
	v_add_f64 v[74:75], v[24:25], -v[26:27]
	v_add_f64 v[14:15], v[14:15], v[99:100]
	v_fma_f64 v[42:43], v[78:79], s[8:9], v[38:39]
	v_fma_f64 v[38:39], v[78:79], s[0:1], v[38:39]
	;; [unrolled: 1-line block ×12, first 2 shown]
	v_add_f64 v[22:23], v[22:23], v[28:29]
	v_add_f64 v[4:5], v[4:5], v[6:7]
	;; [unrolled: 1-line block ×3, first 2 shown]
	v_fma_f64 v[60:61], v[58:59], s[10:11], v[68:69]
	v_fma_f64 v[68:69], v[62:63], s[10:11], v[72:73]
	v_fma_f64 v[34:35], v[62:63], s[10:11], v[34:35]
	v_fma_f64 v[40:41], v[58:59], s[10:11], v[40:41]
	v_add_f64 v[20:21], v[20:21], v[24:25]
	v_add_f64 v[44:45], v[44:45], v[48:49]
	;; [unrolled: 1-line block ×4, first 2 shown]
	v_fma_f64 v[10:11], v[80:81], s[12:13], v[42:43]
	v_fma_f64 v[24:25], v[80:81], s[4:5], v[38:39]
	;; [unrolled: 1-line block ×12, first 2 shown]
	v_add_f64 v[22:23], v[22:23], v[30:31]
	v_add_f64 v[4:5], v[4:5], v[8:9]
	;; [unrolled: 1-line block ×3, first 2 shown]
	v_mul_f64 v[36:37], v[60:61], s[12:13]
	v_mul_f64 v[60:61], v[60:61], s[14:15]
	;; [unrolled: 1-line block ×8, first 2 shown]
	v_add_f64 v[20:21], v[20:21], v[26:27]
	v_fma_f64 v[26:27], v[44:45], s[10:11], v[10:11]
	v_fma_f64 v[30:31], v[44:45], s[10:11], v[24:25]
	;; [unrolled: 1-line block ×8, first 2 shown]
	v_add_f64 v[2:3], v[22:23], v[6:7]
	v_add_f64 v[6:7], v[22:23], -v[6:7]
	v_fma_f64 v[24:25], v[52:53], s[14:15], v[36:37]
	v_fma_f64 v[52:53], v[52:53], s[4:5], v[60:61]
	;; [unrolled: 1-line block ×8, first 2 shown]
	v_add_f64 v[0:1], v[20:21], v[4:5]
	v_add_f64 v[4:5], v[20:21], -v[4:5]
	v_add_f64 v[8:9], v[26:27], v[24:25]
	v_add_f64 v[10:11], v[38:39], v[52:53]
	;; [unrolled: 1-line block ×8, first 2 shown]
	v_add_f64 v[24:25], v[26:27], -v[24:25]
	v_add_f64 v[26:27], v[38:39], -v[52:53]
	;; [unrolled: 1-line block ×8, first 2 shown]
	ds_store_b128 v219, v[0:3]
	ds_store_b128 v219, v[8:11] offset:1088
	ds_store_b128 v219, v[12:15] offset:2176
	;; [unrolled: 1-line block ×9, first 2 shown]
	s_waitcnt lgkmcnt(0)
	s_barrier
	buffer_gl0_inv
	s_and_saveexec_b32 s0, vcc_lo
	s_cbranch_execz .LBB0_26
; %bb.25:
	v_mul_lo_u32 v2, s3, v86
	v_mul_lo_u32 v3, s2, v87
	v_mad_u64_u32 v[0:1], null, s2, v86, 0
	v_dual_mov_b32 v89, 0 :: v_dual_add_nc_u32 v10, 0x44, v88
	v_lshlrev_b64 v[8:9], 4, v[84:85]
	v_lshl_add_u32 v34, v88, 4, v217
	s_delay_alu instid0(VALU_DEP_3) | instskip(SKIP_4) | instid1(VALU_DEP_4)
	v_dual_mov_b32 v11, v89 :: v_dual_add_nc_u32 v12, 0x88, v88
	v_add3_u32 v1, v1, v3, v2
	v_lshlrev_b64 v[14:15], 4, v[88:89]
	v_dual_mov_b32 v13, v89 :: v_dual_add_nc_u32 v22, 0xcc, v88
	v_dual_mov_b32 v23, v89 :: v_dual_add_nc_u32 v24, 0x110, v88
	v_lshlrev_b64 v[16:17], 4, v[0:1]
	ds_load_b128 v[0:3], v34
	ds_load_b128 v[4:7], v34 offset:1088
	v_mov_b32_e32 v25, v89
	v_lshlrev_b64 v[22:23], 4, v[22:23]
	v_add_co_u32 v18, vcc_lo, s6, v16
	v_add_co_ci_u32_e32 v19, vcc_lo, s7, v17, vcc_lo
	v_lshlrev_b64 v[16:17], 4, v[10:11]
	s_delay_alu instid0(VALU_DEP_3) | instskip(NEXT) | instid1(VALU_DEP_3)
	v_add_co_u32 v36, vcc_lo, v18, v8
	v_add_co_ci_u32_e32 v37, vcc_lo, v19, v9, vcc_lo
	v_lshlrev_b64 v[18:19], 4, v[12:13]
	s_delay_alu instid0(VALU_DEP_3) | instskip(NEXT) | instid1(VALU_DEP_3)
	v_add_co_u32 v20, vcc_lo, v36, v14
	v_add_co_ci_u32_e32 v21, vcc_lo, v37, v15, vcc_lo
	ds_load_b128 v[8:11], v34 offset:2176
	ds_load_b128 v[12:15], v34 offset:3264
	v_add_co_u32 v16, vcc_lo, v36, v16
	v_add_co_ci_u32_e32 v17, vcc_lo, v37, v17, vcc_lo
	v_add_co_u32 v18, vcc_lo, v36, v18
	v_add_co_ci_u32_e32 v19, vcc_lo, v37, v19, vcc_lo
	v_add_co_u32 v22, vcc_lo, v36, v22
	s_waitcnt lgkmcnt(3)
	global_store_b128 v[20:21], v[0:3], off
	s_waitcnt lgkmcnt(2)
	global_store_b128 v[16:17], v[4:7], off
	v_dual_mov_b32 v3, v89 :: v_dual_add_nc_u32 v2, 0x154, v88
	v_add_co_ci_u32_e32 v23, vcc_lo, v37, v23, vcc_lo
	v_lshlrev_b64 v[0:1], 4, v[24:25]
	s_waitcnt lgkmcnt(1)
	global_store_b128 v[18:19], v[8:11], off
	s_waitcnt lgkmcnt(0)
	global_store_b128 v[22:23], v[12:15], off
	v_add_nc_u32_e32 v10, 0x198, v88
	v_lshlrev_b64 v[8:9], 4, v[2:3]
	v_add_co_u32 v24, vcc_lo, v36, v0
	v_dual_mov_b32 v11, v89 :: v_dual_add_nc_u32 v16, 0x1dc, v88
	v_add_co_ci_u32_e32 v25, vcc_lo, v37, v1, vcc_lo
	s_delay_alu instid0(VALU_DEP_4) | instskip(SKIP_1) | instid1(VALU_DEP_4)
	v_add_co_u32 v26, vcc_lo, v36, v8
	v_add_co_ci_u32_e32 v27, vcc_lo, v37, v9, vcc_lo
	v_lshlrev_b64 v[8:9], 4, v[10:11]
	v_dual_mov_b32 v17, v89 :: v_dual_add_nc_u32 v18, 0x220, v88
	v_dual_mov_b32 v19, v89 :: v_dual_add_nc_u32 v88, 0x264, v88
	ds_load_b128 v[0:3], v34 offset:4352
	ds_load_b128 v[4:7], v34 offset:5440
	v_add_co_u32 v28, vcc_lo, v36, v8
	v_add_co_ci_u32_e32 v29, vcc_lo, v37, v9, vcc_lo
	ds_load_b128 v[8:11], v34 offset:6528
	ds_load_b128 v[12:15], v34 offset:7616
	v_lshlrev_b64 v[30:31], 4, v[16:17]
	v_lshlrev_b64 v[32:33], 4, v[18:19]
	ds_load_b128 v[16:19], v34 offset:8704
	ds_load_b128 v[20:23], v34 offset:9792
	v_lshlrev_b64 v[34:35], 4, v[88:89]
	v_add_co_u32 v30, vcc_lo, v36, v30
	v_add_co_ci_u32_e32 v31, vcc_lo, v37, v31, vcc_lo
	v_add_co_u32 v32, vcc_lo, v36, v32
	v_add_co_ci_u32_e32 v33, vcc_lo, v37, v33, vcc_lo
	;; [unrolled: 2-line block ×3, first 2 shown]
	s_waitcnt lgkmcnt(5)
	global_store_b128 v[24:25], v[0:3], off
	s_waitcnt lgkmcnt(4)
	global_store_b128 v[26:27], v[4:7], off
	;; [unrolled: 2-line block ×6, first 2 shown]
.LBB0_26:
	s_nop 0
	s_sendmsg sendmsg(MSG_DEALLOC_VGPRS)
	s_endpgm
	.section	.rodata,"a",@progbits
	.p2align	6, 0x0
	.amdhsa_kernel fft_rtc_back_len680_factors_17_4_10_wgs_204_tpt_68_halfLds_dp_op_CI_CI_unitstride_sbrr_C2R_dirReg
		.amdhsa_group_segment_fixed_size 0
		.amdhsa_private_segment_fixed_size 0
		.amdhsa_kernarg_size 104
		.amdhsa_user_sgpr_count 15
		.amdhsa_user_sgpr_dispatch_ptr 0
		.amdhsa_user_sgpr_queue_ptr 0
		.amdhsa_user_sgpr_kernarg_segment_ptr 1
		.amdhsa_user_sgpr_dispatch_id 0
		.amdhsa_user_sgpr_private_segment_size 0
		.amdhsa_wavefront_size32 1
		.amdhsa_uses_dynamic_stack 0
		.amdhsa_enable_private_segment 0
		.amdhsa_system_sgpr_workgroup_id_x 1
		.amdhsa_system_sgpr_workgroup_id_y 0
		.amdhsa_system_sgpr_workgroup_id_z 0
		.amdhsa_system_sgpr_workgroup_info 0
		.amdhsa_system_vgpr_workitem_id 0
		.amdhsa_next_free_vgpr 255
		.amdhsa_next_free_sgpr 58
		.amdhsa_reserve_vcc 1
		.amdhsa_float_round_mode_32 0
		.amdhsa_float_round_mode_16_64 0
		.amdhsa_float_denorm_mode_32 3
		.amdhsa_float_denorm_mode_16_64 3
		.amdhsa_dx10_clamp 1
		.amdhsa_ieee_mode 1
		.amdhsa_fp16_overflow 0
		.amdhsa_workgroup_processor_mode 1
		.amdhsa_memory_ordered 1
		.amdhsa_forward_progress 0
		.amdhsa_shared_vgpr_count 0
		.amdhsa_exception_fp_ieee_invalid_op 0
		.amdhsa_exception_fp_denorm_src 0
		.amdhsa_exception_fp_ieee_div_zero 0
		.amdhsa_exception_fp_ieee_overflow 0
		.amdhsa_exception_fp_ieee_underflow 0
		.amdhsa_exception_fp_ieee_inexact 0
		.amdhsa_exception_int_div_zero 0
	.end_amdhsa_kernel
	.text
.Lfunc_end0:
	.size	fft_rtc_back_len680_factors_17_4_10_wgs_204_tpt_68_halfLds_dp_op_CI_CI_unitstride_sbrr_C2R_dirReg, .Lfunc_end0-fft_rtc_back_len680_factors_17_4_10_wgs_204_tpt_68_halfLds_dp_op_CI_CI_unitstride_sbrr_C2R_dirReg
                                        ; -- End function
	.section	.AMDGPU.csdata,"",@progbits
; Kernel info:
; codeLenInByte = 13908
; NumSgprs: 60
; NumVgprs: 255
; ScratchSize: 0
; MemoryBound: 0
; FloatMode: 240
; IeeeMode: 1
; LDSByteSize: 0 bytes/workgroup (compile time only)
; SGPRBlocks: 7
; VGPRBlocks: 31
; NumSGPRsForWavesPerEU: 60
; NumVGPRsForWavesPerEU: 255
; Occupancy: 5
; WaveLimiterHint : 1
; COMPUTE_PGM_RSRC2:SCRATCH_EN: 0
; COMPUTE_PGM_RSRC2:USER_SGPR: 15
; COMPUTE_PGM_RSRC2:TRAP_HANDLER: 0
; COMPUTE_PGM_RSRC2:TGID_X_EN: 1
; COMPUTE_PGM_RSRC2:TGID_Y_EN: 0
; COMPUTE_PGM_RSRC2:TGID_Z_EN: 0
; COMPUTE_PGM_RSRC2:TIDIG_COMP_CNT: 0
	.text
	.p2alignl 7, 3214868480
	.fill 96, 4, 3214868480
	.type	__hip_cuid_e9fb03a8e78f5736,@object ; @__hip_cuid_e9fb03a8e78f5736
	.section	.bss,"aw",@nobits
	.globl	__hip_cuid_e9fb03a8e78f5736
__hip_cuid_e9fb03a8e78f5736:
	.byte	0                               ; 0x0
	.size	__hip_cuid_e9fb03a8e78f5736, 1

	.ident	"AMD clang version 19.0.0git (https://github.com/RadeonOpenCompute/llvm-project roc-6.4.0 25133 c7fe45cf4b819c5991fe208aaa96edf142730f1d)"
	.section	".note.GNU-stack","",@progbits
	.addrsig
	.addrsig_sym __hip_cuid_e9fb03a8e78f5736
	.amdgpu_metadata
---
amdhsa.kernels:
  - .args:
      - .actual_access:  read_only
        .address_space:  global
        .offset:         0
        .size:           8
        .value_kind:     global_buffer
      - .offset:         8
        .size:           8
        .value_kind:     by_value
      - .actual_access:  read_only
        .address_space:  global
        .offset:         16
        .size:           8
        .value_kind:     global_buffer
      - .actual_access:  read_only
        .address_space:  global
        .offset:         24
        .size:           8
        .value_kind:     global_buffer
      - .actual_access:  read_only
        .address_space:  global
        .offset:         32
        .size:           8
        .value_kind:     global_buffer
      - .offset:         40
        .size:           8
        .value_kind:     by_value
      - .actual_access:  read_only
        .address_space:  global
        .offset:         48
        .size:           8
        .value_kind:     global_buffer
      - .actual_access:  read_only
        .address_space:  global
        .offset:         56
        .size:           8
        .value_kind:     global_buffer
      - .offset:         64
        .size:           4
        .value_kind:     by_value
      - .actual_access:  read_only
        .address_space:  global
        .offset:         72
        .size:           8
        .value_kind:     global_buffer
      - .actual_access:  read_only
        .address_space:  global
        .offset:         80
        .size:           8
        .value_kind:     global_buffer
      - .actual_access:  read_only
        .address_space:  global
        .offset:         88
        .size:           8
        .value_kind:     global_buffer
      - .actual_access:  write_only
        .address_space:  global
        .offset:         96
        .size:           8
        .value_kind:     global_buffer
    .group_segment_fixed_size: 0
    .kernarg_segment_align: 8
    .kernarg_segment_size: 104
    .language:       OpenCL C
    .language_version:
      - 2
      - 0
    .max_flat_workgroup_size: 204
    .name:           fft_rtc_back_len680_factors_17_4_10_wgs_204_tpt_68_halfLds_dp_op_CI_CI_unitstride_sbrr_C2R_dirReg
    .private_segment_fixed_size: 0
    .sgpr_count:     60
    .sgpr_spill_count: 0
    .symbol:         fft_rtc_back_len680_factors_17_4_10_wgs_204_tpt_68_halfLds_dp_op_CI_CI_unitstride_sbrr_C2R_dirReg.kd
    .uniform_work_group_size: 1
    .uses_dynamic_stack: false
    .vgpr_count:     255
    .vgpr_spill_count: 0
    .wavefront_size: 32
    .workgroup_processor_mode: 1
amdhsa.target:   amdgcn-amd-amdhsa--gfx1100
amdhsa.version:
  - 1
  - 2
...

	.end_amdgpu_metadata
